;; amdgpu-corpus repo=ROCm/rocFFT kind=compiled arch=gfx1201 opt=O3
	.text
	.amdgcn_target "amdgcn-amd-amdhsa--gfx1201"
	.amdhsa_code_object_version 6
	.protected	bluestein_single_back_len1904_dim1_sp_op_CI_CI ; -- Begin function bluestein_single_back_len1904_dim1_sp_op_CI_CI
	.globl	bluestein_single_back_len1904_dim1_sp_op_CI_CI
	.p2align	8
	.type	bluestein_single_back_len1904_dim1_sp_op_CI_CI,@function
bluestein_single_back_len1904_dim1_sp_op_CI_CI: ; @bluestein_single_back_len1904_dim1_sp_op_CI_CI
; %bb.0:
	s_load_b128 s[8:11], s[0:1], 0x28
	v_mul_u32_u24_e32 v1, 0x227, v0
	s_mov_b32 s2, exec_lo
	v_mov_b32_e32 v250, 0
	s_delay_alu instid0(VALU_DEP_2) | instskip(NEXT) | instid1(VALU_DEP_1)
	v_lshrrev_b32_e32 v1, 16, v1
	v_add_nc_u32_e32 v249, ttmp9, v1
	s_wait_kmcnt 0x0
	s_delay_alu instid0(VALU_DEP_1)
	v_cmpx_gt_u64_e64 s[8:9], v[249:250]
	s_cbranch_execz .LBB0_23
; %bb.1:
	v_mul_lo_u16 v1, 0x77, v1
	s_clause 0x1
	s_load_b64 s[8:9], s[0:1], 0x0
	s_load_b64 s[12:13], s[0:1], 0x38
	s_delay_alu instid0(VALU_DEP_1) | instskip(NEXT) | instid1(VALU_DEP_1)
	v_sub_nc_u16 v0, v0, v1
	v_and_b32_e32 v250, 0xffff, v0
	v_cmp_gt_u16_e32 vcc_lo, 0x70, v0
	s_delay_alu instid0(VALU_DEP_2)
	v_lshlrev_b32_e32 v138, 3, v250
	v_or_b32_e32 v248, 0x380, v250
	v_or_b32_e32 v247, 0x700, v250
	s_and_saveexec_b32 s3, vcc_lo
	s_cbranch_execz .LBB0_3
; %bb.2:
	s_load_b64 s[4:5], s[0:1], 0x18
	v_add_nc_u32_e32 v74, 0x1400, v138
	v_add_nc_u32_e32 v76, 0x2000, v138
	;; [unrolled: 1-line block ×3, first 2 shown]
	s_wait_kmcnt 0x0
	s_load_b128 s[4:7], s[4:5], 0x0
	s_clause 0x1
	global_load_b64 v[10:11], v138, s[8:9]
	global_load_b64 v[12:13], v138, s[8:9] offset:7168
	s_wait_kmcnt 0x0
	v_mad_co_u64_u32 v[0:1], null, s6, v249, 0
	v_mad_co_u64_u32 v[2:3], null, s4, v250, 0
	;; [unrolled: 1-line block ×3, first 2 shown]
	s_delay_alu instid0(VALU_DEP_2) | instskip(SKIP_1) | instid1(VALU_DEP_1)
	v_mad_co_u64_u32 v[4:5], null, s7, v249, v[1:2]
	s_mul_u64 s[6:7], s[4:5], 0x380
	v_mad_co_u64_u32 v[5:6], null, s5, v250, v[3:4]
	v_mad_co_u64_u32 v[6:7], null, s4, v248, 0
	v_mov_b32_e32 v1, v4
	s_delay_alu instid0(VALU_DEP_3) | instskip(NEXT) | instid1(VALU_DEP_3)
	v_mov_b32_e32 v3, v5
	v_dual_mov_b32 v5, v9 :: v_dual_mov_b32 v4, v7
	s_delay_alu instid0(VALU_DEP_3) | instskip(NEXT) | instid1(VALU_DEP_3)
	v_lshlrev_b64_e32 v[0:1], 3, v[0:1]
	v_lshlrev_b64_e32 v[2:3], 3, v[2:3]
	s_delay_alu instid0(VALU_DEP_2) | instskip(NEXT) | instid1(VALU_DEP_1)
	v_add_co_u32 v24, s2, s10, v0
	v_add_co_ci_u32_e64 v25, s2, s11, v1, s2
	v_mad_co_u64_u32 v[0:1], null, s5, v248, v[4:5]
	s_delay_alu instid0(VALU_DEP_3) | instskip(SKIP_1) | instid1(VALU_DEP_3)
	v_add_co_u32 v1, s2, v24, v2
	s_wait_alu 0xf1ff
	v_add_co_ci_u32_e64 v2, s2, v25, v3, s2
	v_mad_co_u64_u32 v[3:4], null, s5, v247, v[5:6]
	s_wait_alu 0xfffe
	v_add_co_u32 v4, s2, v1, s6
	s_wait_alu 0xf1ff
	v_add_co_ci_u32_e64 v5, s2, s7, v2, s2
	v_mov_b32_e32 v7, v0
	s_delay_alu instid0(VALU_DEP_3) | instskip(SKIP_1) | instid1(VALU_DEP_3)
	v_add_co_u32 v14, s2, v4, s6
	s_wait_alu 0xf1ff
	v_add_co_ci_u32_e64 v15, s2, s7, v5, s2
	s_delay_alu instid0(VALU_DEP_3) | instskip(NEXT) | instid1(VALU_DEP_3)
	v_lshlrev_b64_e32 v[6:7], 3, v[6:7]
	v_add_co_u32 v16, s2, v14, s6
	s_wait_alu 0xf1ff
	s_delay_alu instid0(VALU_DEP_3) | instskip(SKIP_1) | instid1(VALU_DEP_3)
	v_add_co_ci_u32_e64 v17, s2, s7, v15, s2
	v_mov_b32_e32 v9, v3
	v_add_co_u32 v18, s2, v16, s6
	s_wait_alu 0xf1ff
	s_delay_alu instid0(VALU_DEP_3) | instskip(NEXT) | instid1(VALU_DEP_3)
	v_add_co_ci_u32_e64 v19, s2, s7, v17, s2
	v_lshlrev_b64_e32 v[8:9], 3, v[8:9]
	s_delay_alu instid0(VALU_DEP_3) | instskip(SKIP_1) | instid1(VALU_DEP_3)
	v_add_co_u32 v20, s2, v18, s6
	s_wait_alu 0xf1ff
	v_add_co_ci_u32_e64 v21, s2, s7, v19, s2
	v_add_co_u32 v6, s2, v24, v6
	s_wait_alu 0xf1ff
	v_add_co_ci_u32_e64 v7, s2, v25, v7, s2
	;; [unrolled: 3-line block ×4, first 2 shown]
	global_load_b64 v[0:1], v[1:2], off
	global_load_b64 v[2:3], v138, s[8:9] offset:14336
	s_clause 0x2
	global_load_b64 v[6:7], v[6:7], off
	global_load_b64 v[8:9], v[8:9], off
	;; [unrolled: 1-line block ×3, first 2 shown]
	s_clause 0x2
	global_load_b64 v[28:29], v138, s[8:9] offset:896
	global_load_b64 v[30:31], v138, s[8:9] offset:1792
	;; [unrolled: 1-line block ×3, first 2 shown]
	global_load_b64 v[14:15], v[14:15], off
	s_clause 0x3
	global_load_b64 v[34:35], v138, s[8:9] offset:3584
	global_load_b64 v[36:37], v138, s[8:9] offset:4480
	;; [unrolled: 1-line block ×4, first 2 shown]
	global_load_b64 v[16:17], v[16:17], off
	v_add_co_u32 v24, s2, v22, s6
	s_wait_alu 0xf1ff
	v_add_co_ci_u32_e64 v25, s2, s7, v23, s2
	v_add_nc_u32_e32 v73, 0xc00, v138
	v_add_nc_u32_e32 v75, 0x1800, v138
	s_delay_alu instid0(VALU_DEP_3) | instskip(NEXT) | instid1(VALU_DEP_1)
	v_mad_co_u64_u32 v[26:27], null, 0x700, s4, v[24:25]
	v_add_co_u32 v53, s2, v26, s6
	s_wait_loadcnt 0x8
	s_delay_alu instid0(VALU_DEP_2)
	v_mad_co_u64_u32 v[42:43], null, 0x700, s5, v[27:28]
	s_clause 0x2
	global_load_b64 v[43:44], v138, s[8:9] offset:8064
	global_load_b64 v[45:46], v138, s[8:9] offset:8960
	;; [unrolled: 1-line block ×3, first 2 shown]
	global_load_b64 v[18:19], v[18:19], off
	global_load_b64 v[20:21], v[20:21], off
	s_clause 0x1
	global_load_b64 v[49:50], v138, s[8:9] offset:10752
	global_load_b64 v[51:52], v138, s[8:9] offset:11648
	global_load_b64 v[22:23], v[22:23], off
	global_load_b64 v[24:25], v[24:25], off
	v_mul_f32_e32 v70, v0, v11
	v_mul_f32_e32 v69, v1, v11
	;; [unrolled: 1-line block ×4, first 2 shown]
	v_dual_mov_b32 v27, v42 :: v_dual_mul_f32 v72, v8, v3
	v_fma_f32 v70, v1, v10, -v70
	v_mul_f32_e32 v1, v4, v29
	v_mul_f32_e32 v13, v6, v13
	s_wait_alu 0xf1ff
	v_add_co_ci_u32_e64 v54, s2, s7, v27, s2
	v_add_co_u32 v55, s2, v53, s6
	global_load_b64 v[26:27], v[26:27], off
	s_wait_alu 0xf1ff
	v_add_co_ci_u32_e64 v56, s2, s7, v54, s2
	v_add_co_u32 v57, s2, v55, s6
	global_load_b64 v[53:54], v[53:54], off
	;; [unrolled: 4-line block ×3, first 2 shown]
	s_wait_alu 0xf1ff
	v_add_co_ci_u32_e64 v60, s2, s7, v58, s2
	global_load_b64 v[57:58], v[57:58], off
	v_add_co_u32 v61, s2, v59, s6
	s_wait_alu 0xf1ff
	v_add_co_ci_u32_e64 v62, s2, s7, v60, s2
	global_load_b64 v[59:60], v[59:60], off
	v_add_co_u32 v63, s2, v61, s6
	s_wait_alu 0xf1ff
	v_add_co_ci_u32_e64 v64, s2, s7, v62, s2
	global_load_b64 v[61:62], v[61:62], off
	s_clause 0x1
	global_load_b64 v[65:66], v138, s[8:9] offset:12544
	global_load_b64 v[67:68], v138, s[8:9] offset:13440
	global_load_b64 v[63:64], v[63:64], off
	v_fmac_f32_e32 v71, v8, v2
	v_fma_f32 v1, v5, v28, -v1
	v_fma_f32 v72, v9, v2, -v72
	v_add_nc_u32_e32 v42, 0x400, v138
	s_wait_loadcnt 0xe
	v_mul_f32_e32 v2, v18, v35
	s_wait_loadcnt 0xd
	v_mul_f32_e32 v8, v20, v37
	v_dual_fmac_f32 v69, v0, v10 :: v_dual_mul_f32 v0, v5, v29
	v_add_nc_u32_e32 v77, 0x2800, v138
	v_mul_f32_e32 v5, v17, v33
	s_delay_alu instid0(VALU_DEP_4)
	v_fma_f32 v8, v21, v36, -v8
	s_wait_loadcnt 0xa
	v_dual_mul_f32 v9, v22, v39 :: v_dual_fmac_f32 v0, v4, v28
	v_mul_f32_e32 v4, v14, v31
	v_fmac_f32_e32 v11, v6, v12
	ds_store_2addr_b64 v138, v[69:70], v[0:1] offset1:112
	v_dual_mul_f32 v1, v16, v33 :: v_dual_mul_f32 v0, v19, v35
	v_fma_f32 v12, v7, v12, -v13
	v_mul_f32_e32 v7, v21, v37
	v_fma_f32 v4, v15, v30, -v4
	s_delay_alu instid0(VALU_DEP_4) | instskip(SKIP_3) | instid1(VALU_DEP_1)
	v_fma_f32 v6, v17, v32, -v1
	v_fmac_f32_e32 v0, v18, v34
	v_fma_f32 v1, v19, v34, -v2
	v_dual_fmac_f32 v7, v20, v36 :: v_dual_mul_f32 v2, v23, v39
	v_dual_mul_f32 v3, v15, v31 :: v_dual_fmac_f32 v2, v22, v38
	s_delay_alu instid0(VALU_DEP_1)
	v_fmac_f32_e32 v3, v14, v30
	s_wait_loadcnt 0x5
	v_mul_f32_e32 v10, v57, v50
	ds_store_2addr_b64 v73, v[0:1], v[7:8] offset0:64 offset1:176
	v_mul_f32_e32 v0, v27, v44
	v_fmac_f32_e32 v5, v16, v32
	v_mul_f32_e32 v7, v26, v44
	v_mul_f32_e32 v8, v56, v48
	s_delay_alu instid0(VALU_DEP_4)
	v_dual_mul_f32 v1, v24, v41 :: v_dual_fmac_f32 v0, v26, v43
	ds_store_2addr_b64 v42, v[3:4], v[5:6] offset0:96 offset1:208
	v_fma_f32 v14, v58, v49, -v10
	v_fmac_f32_e32 v8, v55, v47
	s_wait_loadcnt 0x4
	v_mul_f32_e32 v10, v59, v52
	v_fma_f32 v3, v23, v38, -v9
	s_wait_loadcnt 0x0
	v_dual_mul_f32 v9, v53, v46 :: v_dual_mul_f32 v20, v63, v68
	v_mul_f32_e32 v4, v25, v41
	v_mul_f32_e32 v6, v54, v46
	v_fma_f32 v5, v25, v40, -v1
	v_mul_f32_e32 v18, v61, v66
	v_fma_f32 v1, v27, v43, -v7
	v_fma_f32 v7, v54, v45, -v9
	v_mul_f32_e32 v9, v55, v48
	v_mul_f32_e32 v13, v58, v50
	;; [unrolled: 1-line block ×5, first 2 shown]
	v_fmac_f32_e32 v4, v24, v40
	v_fmac_f32_e32 v6, v53, v45
	v_fma_f32 v9, v56, v47, -v9
	v_fmac_f32_e32 v13, v57, v49
	v_fmac_f32_e32 v15, v59, v51
	v_fma_f32 v16, v60, v51, -v10
	v_fmac_f32_e32 v17, v61, v65
	v_fma_f32 v18, v62, v65, -v18
	;; [unrolled: 2-line block ×3, first 2 shown]
	ds_store_2addr_b64 v74, v[2:3], v[4:5] offset0:32 offset1:144
	ds_store_2addr_b64 v75, v[11:12], v[0:1] offset0:128 offset1:240
	;; [unrolled: 1-line block ×5, first 2 shown]
	ds_store_b64 v138, v[71:72] offset:14336
.LBB0_3:
	s_or_b32 exec_lo, exec_lo, s3
	s_clause 0x1
	s_load_b64 s[4:5], s[0:1], 0x20
	s_load_b64 s[2:3], s[0:1], 0x8
	v_mov_b32_e32 v0, 0
	v_mov_b32_e32 v1, 0
                                        ; kill: def $vgpr2 killed $sgpr0 killed $exec
	global_wb scope:SCOPE_SE
	s_wait_dscnt 0x0
	s_wait_kmcnt 0x0
	s_barrier_signal -1
	s_barrier_wait -1
	global_inv scope:SCOPE_SE
                                        ; implicit-def: $vgpr32
                                        ; implicit-def: $vgpr6
                                        ; implicit-def: $vgpr10
                                        ; implicit-def: $vgpr14
                                        ; implicit-def: $vgpr22
                                        ; implicit-def: $vgpr30
                                        ; implicit-def: $vgpr18
                                        ; implicit-def: $vgpr26
	s_and_saveexec_b32 s0, vcc_lo
	s_cbranch_execz .LBB0_5
; %bb.4:
	v_add_nc_u32_e32 v4, 0x400, v138
	v_add_nc_u32_e32 v5, 0xc00, v138
	;; [unrolled: 1-line block ×3, first 2 shown]
	ds_load_2addr_b64 v[0:3], v138 offset1:112
	v_add_nc_u32_e32 v7, 0x2800, v138
	ds_load_2addr_b64 v[24:27], v4 offset0:96 offset1:208
	ds_load_2addr_b64 v[16:19], v5 offset0:64 offset1:176
	v_add_nc_u32_e32 v4, 0x1800, v138
	v_add_nc_u32_e32 v5, 0x2000, v138
	;; [unrolled: 1-line block ×3, first 2 shown]
	ds_load_2addr_b64 v[28:31], v6 offset0:32 offset1:144
	ds_load_2addr_b64 v[20:23], v4 offset0:128 offset1:240
	;; [unrolled: 1-line block ×5, first 2 shown]
	ds_load_b64 v[32:33], v138 offset:14336
.LBB0_5:
	s_wait_alu 0xfffe
	s_or_b32 exec_lo, exec_lo, s0
	s_wait_dscnt 0x0
	v_dual_sub_f32 v44, v3, v33 :: v_dual_sub_f32 v75, v2, v32
	v_dual_add_f32 v107, v33, v3 :: v_dual_add_f32 v70, v6, v24
	v_dual_sub_f32 v76, v24, v6 :: v_dual_sub_f32 v47, v27, v5
	s_delay_alu instid0(VALU_DEP_3) | instskip(NEXT) | instid1(VALU_DEP_4)
	v_dual_mul_f32 v50, 0xbeb8f4ab, v75 :: v_dual_add_f32 v109, v7, v25
	v_dual_add_f32 v69, v32, v2 :: v_dual_mul_f32 v48, 0xbeb8f4ab, v44
	v_dual_sub_f32 v144, v17, v11 :: v_dual_add_f32 v67, v8, v18
	s_delay_alu instid0(VALU_DEP_3) | instskip(SKIP_1) | instid1(VALU_DEP_4)
	v_fma_f32 v35, 0x3f6eb680, v107, -v50
	v_sub_f32_e32 v46, v25, v7
	v_dual_fmamk_f32 v34, v69, 0x3f6eb680, v48 :: v_dual_sub_f32 v77, v16, v10
	s_delay_alu instid0(VALU_DEP_3) | instskip(NEXT) | instid1(VALU_DEP_2)
	v_dual_mul_f32 v52, 0xbf2c7751, v76 :: v_dual_add_f32 v35, v35, v1
	v_dual_mul_f32 v49, 0xbf2c7751, v46 :: v_dual_add_f32 v34, v34, v0
	v_mul_f32_e32 v51, 0xbf65296c, v47
	s_delay_alu instid0(VALU_DEP_3) | instskip(SKIP_1) | instid1(VALU_DEP_4)
	v_fma_f32 v37, 0x3f3d2fb0, v109, -v52
	v_sub_f32_e32 v78, v26, v4
	v_dual_fmamk_f32 v36, v70, 0x3f3d2fb0, v49 :: v_dual_add_f32 v117, v5, v27
	v_dual_add_f32 v72, v4, v26 :: v_dual_mul_f32 v53, 0xbf7ee86f, v144
	s_delay_alu instid0(VALU_DEP_3) | instskip(SKIP_3) | instid1(VALU_DEP_4)
	v_dual_add_f32 v35, v37, v35 :: v_dual_mul_f32 v54, 0xbf65296c, v78
	v_sub_f32_e32 v145, v19, v9
	v_dual_mul_f32 v56, 0xbf7ee86f, v77 :: v_dual_sub_f32 v147, v29, v15
	v_sub_f32_e32 v79, v18, v8
	v_fma_f32 v37, 0x3ee437d1, v117, -v54
	v_add_f32_e32 v34, v36, v34
	v_fmamk_f32 v36, v72, 0x3ee437d1, v51
	v_dual_add_f32 v120, v9, v19 :: v_dual_sub_f32 v81, v30, v12
	s_delay_alu instid0(VALU_DEP_4) | instskip(SKIP_2) | instid1(VALU_DEP_3)
	v_dual_add_f32 v35, v37, v35 :: v_dual_add_f32 v118, v11, v17
	v_dual_mul_f32 v58, 0xbf763a35, v79 :: v_dual_add_f32 v71, v12, v30
	v_dual_add_f32 v74, v10, v16 :: v_dual_mul_f32 v55, 0xbf763a35, v145
	v_fma_f32 v37, 0x3dbcf732, v118, -v56
	v_dual_add_f32 v34, v36, v34 :: v_dual_add_f32 v119, v15, v29
	v_dual_sub_f32 v146, v31, v13 :: v_dual_sub_f32 v73, v20, v22
	s_delay_alu instid0(VALU_DEP_3) | instskip(SKIP_2) | instid1(VALU_DEP_4)
	v_add_f32_e32 v35, v37, v35
	v_fma_f32 v37, 0xbe8c1d8e, v120, -v58
	v_fmamk_f32 v36, v74, 0x3dbcf732, v53
	v_dual_add_f32 v68, v14, v28 :: v_dual_mul_f32 v59, 0xbf06c442, v146
	v_mul_f32_e32 v57, 0xbf4c4adb, v147
	s_delay_alu instid0(VALU_DEP_4) | instskip(NEXT) | instid1(VALU_DEP_4)
	v_dual_add_f32 v35, v37, v35 :: v_dual_sub_f32 v80, v28, v14
	v_add_f32_e32 v34, v36, v34
	v_dual_fmamk_f32 v36, v67, 0xbe8c1d8e, v55 :: v_dual_add_f32 v121, v13, v31
	v_mul_f32_e32 v62, 0xbf06c442, v81
	s_delay_alu instid0(VALU_DEP_4) | instskip(NEXT) | instid1(VALU_DEP_3)
	v_dual_mul_f32 v60, 0xbf4c4adb, v80 :: v_dual_sub_f32 v143, v21, v23
	v_add_f32_e32 v34, v36, v34
	v_add_f32_e32 v66, v22, v20
	;; [unrolled: 1-line block ×3, first 2 shown]
	s_delay_alu instid0(VALU_DEP_4)
	v_fma_f32 v37, 0xbf1a4643, v119, -v60
	v_mul_f32_e32 v61, 0xbe3c28d5, v143
	global_wb scope:SCOPE_SE
	s_barrier_signal -1
	v_mul_f32_e32 v63, 0xbe3c28d5, v73
	v_add_f32_e32 v35, v37, v35
	v_fma_f32 v37, 0xbf59a7d5, v121, -v62
	v_fmamk_f32 v36, v68, 0xbf1a4643, v57
	s_barrier_wait -1
	global_inv scope:SCOPE_SE
	v_dual_add_f32 v35, v37, v35 :: v_dual_add_f32 v34, v36, v34
	v_fmamk_f32 v36, v71, 0xbf59a7d5, v59
	v_fma_f32 v37, 0xbf7ba420, v122, -v63
	s_delay_alu instid0(VALU_DEP_2) | instskip(NEXT) | instid1(VALU_DEP_2)
	v_add_f32_e32 v34, v36, v34
	v_dual_fmamk_f32 v36, v66, 0xbf7ba420, v61 :: v_dual_add_f32 v65, v37, v35
	s_delay_alu instid0(VALU_DEP_1)
	v_add_f32_e32 v64, v36, v34
	s_and_saveexec_b32 s0, vcc_lo
	s_cbranch_execz .LBB0_7
; %bb.6:
	v_dual_mul_f32 v83, 0x3ee437d1, v121 :: v_dual_mul_f32 v106, 0x3ee437d1, v107
	v_mul_f32_e32 v98, 0x3f3d2fb0, v107
	v_mul_f32_e32 v94, 0xbf4c4adb, v47
	;; [unrolled: 1-line block ×3, first 2 shown]
	s_delay_alu instid0(VALU_DEP_4)
	v_dual_mul_f32 v87, 0x3f65296c, v146 :: v_dual_fmamk_f32 v40, v75, 0x3f65296c, v106
	v_mul_f32_e32 v95, 0xbf7ee86f, v46
	v_fmamk_f32 v34, v75, 0x3f2c7751, v98
	v_mul_f32_e32 v91, 0xbf7ba420, v118
	v_mul_f32_e32 v105, 0xbf1a4643, v109
	v_add_f32_e32 v40, v40, v1
	v_fmamk_f32 v38, v70, 0x3dbcf732, v95
	v_mul_f32_e32 v96, 0x3dbcf732, v109
	v_dual_add_f32 v34, v34, v1 :: v_dual_fmamk_f32 v39, v72, 0xbf1a4643, v94
	v_fmamk_f32 v36, v78, 0x3f4c4adb, v92
	v_mul_f32_e32 v88, 0x3f763a35, v147
	s_delay_alu instid0(VALU_DEP_4) | instskip(SKIP_3) | instid1(VALU_DEP_4)
	v_fmamk_f32 v35, v76, 0x3f7ee86f, v96
	v_mul_f32_e32 v89, 0xbe8c1d8e, v119
	v_mul_f32_e32 v100, 0xbf7ba420, v117
	v_dual_mul_f32 v102, 0x3dbcf732, v121 :: v_dual_mul_f32 v129, 0x3dbcf732, v107
	v_dual_add_f32 v34, v35, v34 :: v_dual_mul_f32 v97, 0xbf2c7751, v44
	v_fmamk_f32 v35, v77, 0x3e3c28d5, v91
	v_mul_f32_e32 v104, 0x3f3d2fb0, v120
	v_mul_f32_e32 v86, 0x3eb8f4ab, v143
	s_delay_alu instid0(VALU_DEP_4) | instskip(SKIP_3) | instid1(VALU_DEP_4)
	v_add_f32_e32 v34, v36, v34
	v_fmamk_f32 v36, v69, 0x3f3d2fb0, v97
	v_mul_f32_e32 v93, 0xbe3c28d5, v144
	v_mul_f32_e32 v101, 0x3f6eb680, v119
	v_dual_mul_f32 v111, 0xbf65296c, v44 :: v_dual_add_f32 v34, v35, v34
	s_delay_alu instid0(VALU_DEP_4) | instskip(SKIP_2) | instid1(VALU_DEP_3)
	v_add_f32_e32 v35, v36, v0
	v_fmamk_f32 v36, v80, 0xbf763a35, v89
	v_dual_mul_f32 v108, 0xbf7ee86f, v146 :: v_dual_mul_f32 v135, 0xbf7ee86f, v44
	v_dual_mul_f32 v112, 0xbf4c4adb, v46 :: v_dual_add_f32 v35, v38, v35
	v_mul_f32_e32 v90, 0xbf59a7d5, v120
	v_fmamk_f32 v38, v74, 0xbf7ba420, v93
	v_mul_f32_e32 v130, 0xbf7ba420, v109
	v_fmamk_f32 v42, v71, 0x3dbcf732, v108
	v_add_f32_e32 v35, v39, v35
	v_fmamk_f32 v37, v79, 0xbf06c442, v90
	v_dual_mul_f32 v164, 0xbf1a4643, v107 :: v_dual_mul_f32 v183, 0xbf1a4643, v118
	v_fmamk_f32 v41, v76, 0x3e3c28d5, v130
	s_delay_alu instid0(VALU_DEP_3)
	v_dual_add_f32 v35, v38, v35 :: v_dual_add_f32 v34, v37, v34
	v_mul_f32_e32 v85, 0x3f06c442, v145
	v_fmamk_f32 v37, v81, 0xbf65296c, v83
	v_fmamk_f32 v45, v75, 0x3f4c4adb, v164
	v_mul_f32_e32 v114, 0x3f763a35, v144
	v_add_f32_e32 v34, v36, v34
	v_mul_f32_e32 v184, 0xbf06c442, v44
	v_mul_f32_e32 v125, 0x3f6eb680, v118
	v_add_f32_e32 v45, v45, v1
	s_delay_alu instid0(VALU_DEP_4)
	v_dual_mul_f32 v203, 0xbf59a7d5, v117 :: v_dual_add_f32 v34, v37, v34
	v_fmamk_f32 v37, v67, 0xbf59a7d5, v85
	v_mul_f32_e32 v82, 0x3f6eb680, v122
	v_fmamk_f32 v39, v76, 0x3f4c4adb, v105
	v_mul_f32_e32 v127, 0x3ee437d1, v120
	v_fmamk_f32 v186, v69, 0xbf59a7d5, v184
	v_add_f32_e32 v35, v37, v35
	s_delay_alu instid0(VALU_DEP_4) | instskip(SKIP_3) | instid1(VALU_DEP_4)
	v_dual_fmamk_f32 v37, v68, 0xbe8c1d8e, v88 :: v_dual_add_f32 v38, v39, v40
	v_fmamk_f32 v40, v71, 0x3ee437d1, v87
	v_fmamk_f32 v36, v73, 0xbeb8f4ab, v82
	v_dual_mul_f32 v187, 0x3f65296c, v46 :: v_dual_add_f32 v186, v186, v0
	v_add_f32_e32 v37, v37, v35
	s_delay_alu instid0(VALU_DEP_3) | instskip(SKIP_2) | instid1(VALU_DEP_4)
	v_dual_mul_f32 v116, 0xbeb8f4ab, v147 :: v_dual_add_f32 v35, v36, v34
	v_fmamk_f32 v36, v79, 0xbf2c7751, v104
	v_mul_f32_e32 v165, 0xbe8c1d8e, v109
	v_add_f32_e32 v37, v40, v37
	v_mul_f32_e32 v103, 0xbe8c1d8e, v118
	v_fmamk_f32 v40, v81, 0x3f7ee86f, v102
	v_fmamk_f32 v39, v78, 0xbe3c28d5, v100
	v_mul_f32_e32 v172, 0x3f763a35, v46
	v_dual_mul_f32 v178, 0x3ee437d1, v109 :: v_dual_fmamk_f32 v189, v70, 0x3ee437d1, v187
	s_delay_alu instid0(VALU_DEP_3) | instskip(SKIP_2) | instid1(VALU_DEP_4)
	v_dual_mul_f32 v141, 0x3eb8f4ab, v144 :: v_dual_add_f32 v38, v39, v38
	v_fmamk_f32 v39, v77, 0xbf763a35, v103
	v_mul_f32_e32 v190, 0xbf7ee86f, v47
	v_dual_fmamk_f32 v175, v70, 0xbe8c1d8e, v172 :: v_dual_add_f32 v186, v189, v186
	s_delay_alu instid0(VALU_DEP_3)
	v_dual_mul_f32 v151, 0xbf59a7d5, v109 :: v_dual_add_f32 v34, v39, v38
	v_fmamk_f32 v38, v66, 0x3f6eb680, v86
	v_fmamk_f32 v39, v69, 0x3ee437d1, v111
	;; [unrolled: 1-line block ×4, first 2 shown]
	v_add_f32_e32 v34, v36, v34
	v_fmamk_f32 v36, v80, 0x3eb8f4ab, v101
	v_dual_mul_f32 v110, 0xbf06c442, v143 :: v_dual_fmamk_f32 v43, v76, 0xbf06c442, v151
	v_mul_f32_e32 v123, 0xbf59a7d5, v119
	v_mul_f32_e32 v124, 0xbf1a4643, v121
	s_delay_alu instid0(VALU_DEP_4) | instskip(SKIP_3) | instid1(VALU_DEP_4)
	v_add_f32_e32 v36, v36, v34
	v_dual_add_f32 v34, v38, v37 :: v_dual_add_f32 v37, v39, v0
	v_fmamk_f32 v38, v70, 0xbf1a4643, v112
	v_mul_f32_e32 v136, 0xbe3c28d5, v46
	v_add_f32_e32 v36, v40, v36
	v_fmamk_f32 v40, v75, 0x3f7ee86f, v129
	v_mul_f32_e32 v131, 0xbe8c1d8e, v117
	v_add_f32_e32 v37, v38, v37
	v_mul_f32_e32 v166, 0x3f6eb680, v117
	v_mul_f32_e32 v132, 0x3f763a35, v47
	v_dual_add_f32 v40, v40, v1 :: v_dual_mul_f32 v113, 0x3e3c28d5, v47
	v_mul_f32_e32 v155, 0xbe8c1d8e, v107
	s_delay_alu instid0(VALU_DEP_4) | instskip(SKIP_1) | instid1(VALU_DEP_4)
	v_fmamk_f32 v163, v78, 0x3eb8f4ab, v166
	v_mul_f32_e32 v128, 0x3f3d2fb0, v122
	v_add_f32_e32 v40, v41, v40
	v_fmamk_f32 v38, v72, 0xbf7ba420, v113
	v_fmamk_f32 v41, v78, 0xbf763a35, v131
	v_mul_f32_e32 v99, 0xbf59a7d5, v122
	v_dual_mul_f32 v142, 0xbf65296c, v145 :: v_dual_mul_f32 v159, 0xbf65296c, v144
	s_delay_alu instid0(VALU_DEP_4)
	v_add_f32_e32 v37, v38, v37
	v_fmamk_f32 v38, v74, 0xbe8c1d8e, v114
	v_add_f32_e32 v40, v41, v40
	v_fmamk_f32 v41, v77, 0xbeb8f4ab, v125
	v_mul_f32_e32 v115, 0x3f2c7751, v145
	v_add_f32_e32 v45, v162, v45
	v_add_f32_e32 v37, v38, v37
	v_mul_f32_e32 v152, 0x3f3d2fb0, v117
	v_mul_f32_e32 v162, 0xbeb8f4ab, v146
	v_fmamk_f32 v38, v67, 0x3f3d2fb0, v115
	v_mul_f32_e32 v148, 0xbf7ba420, v120
	v_mul_f32_e32 v154, 0xbf1a4643, v122
	;; [unrolled: 1-line block ×3, first 2 shown]
	s_delay_alu instid0(VALU_DEP_4) | instskip(SKIP_4) | instid1(VALU_DEP_4)
	v_dual_fmamk_f32 v180, v76, 0xbf65296c, v178 :: v_dual_add_f32 v37, v38, v37
	v_dual_fmamk_f32 v38, v68, 0x3f6eb680, v116 :: v_dual_add_f32 v45, v163, v45
	v_mul_f32_e32 v156, 0xbf763a35, v44
	v_mul_f32_e32 v182, 0xbf2c7751, v147
	;; [unrolled: 1-line block ×3, first 2 shown]
	v_add_f32_e32 v38, v38, v37
	v_mul_f32_e32 v126, 0x3f2c7751, v143
	v_mul_f32_e32 v176, 0xbeb8f4ab, v47
	;; [unrolled: 1-line block ×4, first 2 shown]
	v_dual_add_f32 v38, v42, v38 :: v_dual_fmamk_f32 v39, v73, 0x3f06c442, v99
	v_fmamk_f32 v42, v81, 0xbf4c4adb, v124
	v_dual_mul_f32 v160, 0xbe3c28d5, v145 :: v_dual_mul_f32 v185, 0xbe3c28d5, v146
	v_mul_f32_e32 v171, 0xbf7ba420, v121
	s_delay_alu instid0(VALU_DEP_4)
	v_add_f32_e32 v37, v39, v36
	v_add_f32_e32 v36, v41, v40
	v_fmamk_f32 v41, v69, 0x3dbcf732, v135
	v_fmamk_f32 v39, v79, 0x3f65296c, v127
	;; [unrolled: 1-line block ×4, first 2 shown]
	v_mul_f32_e32 v191, 0x3f65296c, v143
	v_dual_mul_f32 v188, 0x3f6eb680, v120 :: v_dual_mul_f32 v201, 0x3f6eb680, v109
	v_dual_add_f32 v36, v39, v36 :: v_dual_fmamk_f32 v39, v80, 0x3f06c442, v123
	v_fmamk_f32 v169, v71, 0x3f6eb680, v162
	s_delay_alu instid0(VALU_DEP_4)
	v_fmamk_f32 v195, v66, 0x3ee437d1, v191
	v_mul_f32_e32 v197, 0xbe3c28d5, v147
	v_mul_f32_e32 v153, 0x3ee437d1, v118
	v_dual_add_f32 v39, v39, v36 :: v_dual_add_f32 v36, v40, v38
	v_add_f32_e32 v38, v41, v0
	v_fmamk_f32 v40, v70, 0xbf7ba420, v136
	v_mul_f32_e32 v167, 0xbf59a7d5, v118
	s_delay_alu instid0(VALU_DEP_4)
	v_add_f32_e32 v39, v42, v39
	v_mul_f32_e32 v193, 0xbf7ba420, v119
	v_mul_f32_e32 v198, 0x3f3d2fb0, v121
	v_add_f32_e32 v38, v40, v38
	v_fmamk_f32 v40, v72, 0xbe8c1d8e, v132
	v_fmamk_f32 v42, v75, 0x3f763a35, v155
	;; [unrolled: 1-line block ×3, first 2 shown]
	v_mul_f32_e32 v149, 0x3dbcf732, v119
	s_delay_alu instid0(VALU_DEP_4) | instskip(SKIP_3) | instid1(VALU_DEP_3)
	v_dual_fmamk_f32 v163, v77, 0x3f06c442, v167 :: v_dual_add_f32 v38, v40, v38
	v_fmamk_f32 v40, v74, 0x3f6eb680, v141
	v_dual_add_f32 v42, v42, v1 :: v_dual_mul_f32 v133, 0xbf06c442, v147
	v_dual_add_f32 v39, v41, v39 :: v_dual_fmac_f32 v178, 0x3f65296c, v76
	v_add_f32_e32 v38, v40, v38
	v_fmamk_f32 v40, v67, 0x3ee437d1, v142
	s_delay_alu instid0(VALU_DEP_4) | instskip(SKIP_2) | instid1(VALU_DEP_4)
	v_dual_add_f32 v42, v43, v42 :: v_dual_fmamk_f32 v43, v78, 0xbf2c7751, v152
	v_mul_f32_e32 v161, 0x3f7ee86f, v147
	v_mul_f32_e32 v192, 0x3f4c4adb, v144
	v_add_f32_e32 v38, v40, v38
	v_fmamk_f32 v40, v68, 0xbf59a7d5, v133
	v_dual_add_f32 v42, v43, v42 :: v_dual_fmamk_f32 v43, v77, 0x3f65296c, v153
	v_mul_f32_e32 v199, 0xbf763a35, v143
	v_mul_f32_e32 v206, 0x3ee437d1, v119
	s_delay_alu instid0(VALU_DEP_4) | instskip(SKIP_4) | instid1(VALU_DEP_4)
	v_add_f32_e32 v38, v40, v38
	v_fmamk_f32 v40, v71, 0xbf1a4643, v134
	v_add_f32_e32 v41, v43, v42
	v_fmamk_f32 v42, v79, 0x3e3c28d5, v148
	v_fmamk_f32 v43, v69, 0xbe8c1d8e, v156
	v_dual_fmac_f32 v171, 0xbe3c28d5, v81 :: v_dual_add_f32 v38, v40, v38
	v_mul_f32_e32 v181, 0x3dbcf732, v117
	s_delay_alu instid0(VALU_DEP_4)
	v_dual_add_f32 v40, v42, v41 :: v_dual_fmamk_f32 v41, v80, 0xbf7ee86f, v149
	v_fmamk_f32 v42, v66, 0x3f3d2fb0, v126
	v_mul_f32_e32 v157, 0x3f06c442, v46
	v_mul_f32_e32 v179, 0x3f7ee86f, v145
	;; [unrolled: 1-line block ×3, first 2 shown]
	v_add_f32_e32 v40, v41, v40
	v_dual_fmamk_f32 v41, v81, 0x3eb8f4ab, v150 :: v_dual_add_f32 v38, v42, v38
	v_dual_add_f32 v42, v43, v0 :: v_dual_fmamk_f32 v43, v70, 0xbf59a7d5, v157
	v_mul_f32_e32 v46, 0x3eb8f4ab, v46
	s_delay_alu instid0(VALU_DEP_3)
	v_add_f32_e32 v40, v41, v40
	v_fmac_f32_e32 v164, 0xbf4c4adb, v75
	v_fmac_f32_e32 v153, 0xbf65296c, v77
	v_dual_add_f32 v41, v43, v42 :: v_dual_fmamk_f32 v42, v72, 0x3f3d2fb0, v158
	v_fmamk_f32 v43, v73, 0x3f4c4adb, v154
	v_fma_f32 v111, 0x3ee437d1, v69, -v111
	v_fmac_f32_e32 v106, 0xbf65296c, v75
	v_fmac_f32_e32 v131, 0x3f763a35, v78
	v_add_f32_e32 v41, v42, v41
	s_delay_alu instid0(VALU_DEP_4) | instskip(SKIP_2) | instid1(VALU_DEP_3)
	v_dual_fmamk_f32 v42, v74, 0x3ee437d1, v159 :: v_dual_add_f32 v111, v111, v0
	v_fmac_f32_e32 v98, 0xbf2c7751, v75
	v_dual_add_f32 v106, v106, v1 :: v_dual_fmac_f32 v105, 0xbf4c4adb, v76
	v_dual_add_f32 v41, v42, v41 :: v_dual_fmamk_f32 v42, v67, 0xbf7ba420, v160
	s_delay_alu instid0(VALU_DEP_3)
	v_add_f32_e32 v98, v98, v1
	v_fmac_f32_e32 v100, 0x3e3c28d5, v78
	v_fma_f32 v112, 0xbf1a4643, v70, -v112
	v_fmac_f32_e32 v127, 0xbf65296c, v79
	v_dual_add_f32 v41, v42, v41 :: v_dual_fmamk_f32 v42, v68, 0x3dbcf732, v161
	v_fmac_f32_e32 v102, 0xbf7ee86f, v81
	v_fmac_f32_e32 v103, 0x3f763a35, v77
	v_add_f32_e32 v111, v112, v111
	s_delay_alu instid0(VALU_DEP_4) | instskip(SKIP_3) | instid1(VALU_DEP_4)
	v_dual_fmac_f32 v123, 0xbf06c442, v80 :: v_dual_add_f32 v42, v42, v41
	v_add_f32_e32 v41, v43, v40
	v_dual_add_f32 v40, v163, v45 :: v_dual_mul_f32 v163, 0xbf4c4adb, v143
	v_fmac_f32_e32 v130, 0xbe3c28d5, v76
	v_dual_add_f32 v42, v169, v42 :: v_dual_mul_f32 v169, 0xbf4c4adb, v44
	v_fmac_f32_e32 v101, 0xbeb8f4ab, v80
	s_delay_alu instid0(VALU_DEP_4)
	v_fmamk_f32 v173, v66, 0xbf1a4643, v163
	v_fmamk_f32 v43, v79, 0xbf7ee86f, v168
	v_fma_f32 v112, 0xbf7ba420, v72, -v113
	v_fmamk_f32 v45, v69, 0xbf1a4643, v169
	v_fmac_f32_e32 v149, 0x3f7ee86f, v80
	v_mul_f32_e32 v205, 0xbf1a4643, v120
	v_dual_add_f32 v40, v43, v40 :: v_dual_fmamk_f32 v43, v80, 0x3f2c7751, v170
	s_delay_alu instid0(VALU_DEP_4)
	v_add_f32_e32 v45, v45, v0
	v_mul_f32_e32 v143, 0x3f7ee86f, v143
	v_fmac_f32_e32 v165, 0x3f763a35, v76
	v_fmac_f32_e32 v155, 0xbf763a35, v75
	v_dual_add_f32 v43, v43, v40 :: v_dual_add_f32 v40, v173, v42
	v_mul_f32_e32 v173, 0xbf59a7d5, v107
	v_fmac_f32_e32 v167, 0xbf06c442, v77
	v_fmac_f32_e32 v129, 0xbf7ee86f, v75
	s_delay_alu instid0(VALU_DEP_4) | instskip(NEXT) | instid1(VALU_DEP_4)
	v_dual_add_f32 v42, v174, v43 :: v_dual_add_f32 v43, v175, v45
	v_fmamk_f32 v177, v75, 0x3f06c442, v173
	v_mul_f32_e32 v174, 0xbf06c442, v144
	v_mul_f32_e32 v175, 0x3ee437d1, v122
	v_dual_mul_f32 v144, 0x3f2c7751, v144 :: v_dual_add_f32 v129, v129, v1
	s_delay_alu instid0(VALU_DEP_4) | instskip(NEXT) | instid1(VALU_DEP_3)
	v_dual_add_f32 v177, v177, v1 :: v_dual_fmac_f32 v148, 0xbe3c28d5, v79
	v_fmamk_f32 v194, v73, 0xbf65296c, v175
	s_delay_alu instid0(VALU_DEP_3) | instskip(NEXT) | instid1(VALU_DEP_3)
	v_dual_add_f32 v106, v105, v106 :: v_dual_add_f32 v129, v130, v129
	v_dual_add_f32 v177, v180, v177 :: v_dual_fmamk_f32 v180, v78, 0x3f7ee86f, v181
	v_fmac_f32_e32 v181, 0xbf7ee86f, v78
	s_delay_alu instid0(VALU_DEP_3) | instskip(NEXT) | instid1(VALU_DEP_4)
	v_dual_fmac_f32 v125, 0x3eb8f4ab, v77 :: v_dual_add_f32 v100, v100, v106
	v_add_f32_e32 v129, v131, v129
	s_delay_alu instid0(VALU_DEP_4) | instskip(NEXT) | instid1(VALU_DEP_3)
	v_dual_add_f32 v177, v180, v177 :: v_dual_fmamk_f32 v180, v77, 0xbf4c4adb, v183
	v_dual_fmac_f32 v183, 0x3f4c4adb, v77 :: v_dual_add_f32 v100, v103, v100
	s_delay_alu instid0(VALU_DEP_3) | instskip(SKIP_1) | instid1(VALU_DEP_4)
	v_add_f32_e32 v125, v125, v129
	v_fma_f32 v129, 0xbf1a4643, v66, -v163
	v_dual_add_f32 v177, v180, v177 :: v_dual_fmamk_f32 v180, v79, 0x3eb8f4ab, v188
	s_delay_alu instid0(VALU_DEP_3) | instskip(SKIP_2) | instid1(VALU_DEP_4)
	v_dual_fmac_f32 v188, 0xbeb8f4ab, v79 :: v_dual_add_f32 v125, v127, v125
	v_fmac_f32_e32 v104, 0x3f2c7751, v79
	v_fmac_f32_e32 v124, 0x3f4c4adb, v81
	v_add_f32_e32 v177, v180, v177
	s_delay_alu instid0(VALU_DEP_4) | instskip(NEXT) | instid1(VALU_DEP_4)
	v_dual_fmamk_f32 v180, v80, 0x3e3c28d5, v193 :: v_dual_add_f32 v123, v123, v125
	v_add_f32_e32 v100, v104, v100
	v_fma_f32 v104, 0xbe8c1d8e, v74, -v114
	s_delay_alu instid0(VALU_DEP_3)
	v_dual_fmac_f32 v90, 0x3f06c442, v79 :: v_dual_add_f32 v177, v180, v177
	v_fmamk_f32 v45, v72, 0x3f6eb680, v176
	v_fmamk_f32 v180, v81, 0xbf2c7751, v198
	v_fmac_f32_e32 v150, 0xbeb8f4ab, v81
	v_fmac_f32_e32 v151, 0x3f06c442, v76
	v_dual_add_f32 v123, v124, v123 :: v_dual_add_f32 v100, v101, v100
	v_add_f32_e32 v43, v45, v43
	v_fmamk_f32 v45, v74, 0xbf59a7d5, v174
	v_add_f32_e32 v177, v180, v177
	v_fma_f32 v101, 0x3f3d2fb0, v66, -v126
	v_fmac_f32_e32 v128, 0x3f2c7751, v73
	s_delay_alu instid0(VALU_DEP_4) | instskip(SKIP_2) | instid1(VALU_DEP_4)
	v_dual_add_f32 v100, v102, v100 :: v_dual_add_f32 v43, v45, v43
	v_fmamk_f32 v45, v67, 0x3dbcf732, v179
	v_fmac_f32_e32 v168, 0x3f7ee86f, v79
	v_dual_fmac_f32 v152, 0x3f2c7751, v78 :: v_dual_add_f32 v105, v128, v123
	v_fma_f32 v123, 0xbf59a7d5, v68, -v133
	s_delay_alu instid0(VALU_DEP_4) | instskip(SKIP_4) | instid1(VALU_DEP_4)
	v_add_f32_e32 v43, v45, v43
	v_fmamk_f32 v45, v68, 0x3f3d2fb0, v182
	v_fmac_f32_e32 v170, 0xbf2c7751, v80
	v_fmac_f32_e32 v96, 0xbf7ee86f, v76
	;; [unrolled: 1-line block ×3, first 2 shown]
	v_dual_fmac_f32 v82, 0x3eb8f4ab, v73 :: v_dual_add_f32 v43, v45, v43
	v_fmamk_f32 v45, v71, 0xbf7ba420, v185
	v_fmac_f32_e32 v154, 0xbf4c4adb, v73
	v_dual_fmac_f32 v175, 0x3f65296c, v73 :: v_dual_add_f32 v96, v96, v98
	v_fmac_f32_e32 v99, 0xbf06c442, v73
	s_delay_alu instid0(VALU_DEP_4) | instskip(SKIP_4) | instid1(VALU_DEP_4)
	v_add_f32_e32 v45, v45, v43
	v_dual_add_f32 v43, v189, v186 :: v_dual_fmamk_f32 v186, v74, 0xbf1a4643, v192
	v_mul_f32_e32 v189, 0xbeb8f4ab, v145
	v_fma_f32 v131, 0x3f6eb680, v71, -v162
	v_add_f32_e32 v2, v2, v0
	v_dual_fmac_f32 v89, 0x3f763a35, v80 :: v_dual_add_f32 v186, v186, v43
	v_dual_add_f32 v43, v194, v42 :: v_dual_add_f32 v42, v195, v45
	s_delay_alu instid0(VALU_DEP_3)
	v_dual_add_f32 v2, v24, v2 :: v_dual_fmac_f32 v173, 0xbf06c442, v75
	v_fmamk_f32 v196, v67, 0x3f6eb680, v189
	v_mul_f32_e32 v194, 0x3f2c7751, v146
	v_mul_f32_e32 v146, 0xbf763a35, v146
	;; [unrolled: 1-line block ×3, first 2 shown]
	v_add_f32_e32 v173, v173, v1
	v_add_f32_e32 v45, v196, v186
	v_fmamk_f32 v186, v68, 0xbf7ba420, v197
	v_mul_f32_e32 v196, 0xbf7ba420, v107
	v_fmac_f32_e32 v193, 0xbe3c28d5, v80
	v_add_f32_e32 v173, v178, v173
	v_mul_f32_e32 v121, 0xbf59a7d5, v121
	v_dual_add_f32 v45, v186, v45 :: v_dual_fmamk_f32 v186, v71, 0x3f3d2fb0, v194
	s_delay_alu instid0(VALU_DEP_3) | instskip(SKIP_2) | instid1(VALU_DEP_4)
	v_dual_fmamk_f32 v200, v75, 0x3e3c28d5, v196 :: v_dual_add_f32 v173, v181, v173
	v_fmamk_f32 v202, v76, 0xbeb8f4ab, v201
	v_mul_f32_e32 v181, 0x3ee437d1, v117
	v_add_f32_e32 v186, v186, v45
	s_delay_alu instid0(VALU_DEP_4)
	v_add_f32_e32 v200, v200, v1
	v_add_f32_e32 v173, v183, v173
	v_mul_f32_e32 v195, 0xbe8c1d8e, v122
	v_fmac_f32_e32 v201, 0x3eb8f4ab, v76
	v_fmamk_f32 v204, v70, 0x3f6eb680, v46
	v_fma_f32 v46, 0x3f6eb680, v70, -v46
	s_delay_alu instid0(VALU_DEP_4) | instskip(SKIP_2) | instid1(VALU_DEP_3)
	v_dual_add_f32 v173, v188, v173 :: v_dual_fmamk_f32 v180, v73, 0x3f763a35, v195
	v_fmac_f32_e32 v196, 0xbe3c28d5, v75
	v_mul_f32_e32 v147, 0x3f65296c, v147
	v_dual_mul_f32 v178, 0x3f6eb680, v107 :: v_dual_add_f32 v173, v193, v173
	s_delay_alu instid0(VALU_DEP_4)
	v_add_f32_e32 v45, v180, v177
	v_fmamk_f32 v177, v66, 0xbe8c1d8e, v199
	v_mul_f32_e32 v180, 0xbe3c28d5, v44
	v_add_f32_e32 v196, v196, v1
	v_mul_f32_e32 v145, 0xbf4c4adb, v145
	v_mul_f32_e32 v188, 0xbf1a4643, v119
	v_add_f32_e32 v44, v177, v186
	v_add_f32_e32 v186, v202, v200
	v_fmamk_f32 v200, v78, 0x3f06c442, v203
	v_mul_f32_e32 v202, 0x3f3d2fb0, v118
	v_add_f32_e32 v196, v201, v196
	v_fma_f32 v119, 0xbf1a4643, v69, -v169
	v_mul_f32_e32 v183, 0x3dbcf732, v74
	v_add_f32_e32 v186, v200, v186
	v_fmamk_f32 v200, v77, 0xbf2c7751, v202
	s_delay_alu instid0(VALU_DEP_4) | instskip(SKIP_1) | instid1(VALU_DEP_3)
	v_dual_fmac_f32 v166, 0xbeb8f4ab, v78 :: v_dual_add_f32 v119, v119, v0
	v_fmac_f32_e32 v202, 0x3f2c7751, v77
	v_dual_fmac_f32 v195, 0xbf763a35, v73 :: v_dual_add_f32 v186, v200, v186
	v_fmamk_f32 v200, v79, 0x3f4c4adb, v205
	v_fmac_f32_e32 v205, 0xbf4c4adb, v79
	v_fma_f32 v76, 0x3f3d2fb0, v67, -v115
	v_dual_add_f32 v26, v26, v2 :: v_dual_add_f32 v3, v3, v1
	s_delay_alu instid0(VALU_DEP_4)
	v_add_f32_e32 v186, v200, v186
	v_fmamk_f32 v200, v80, 0xbf65296c, v206
	v_fmamk_f32 v177, v69, 0xbf7ba420, v180
	v_fma_f32 v180, 0xbf7ba420, v69, -v180
	v_fmac_f32_e32 v203, 0xbf06c442, v78
	v_fmac_f32_e32 v206, 0x3f65296c, v80
	s_delay_alu instid0(VALU_DEP_4) | instskip(SKIP_2) | instid1(VALU_DEP_3)
	v_dual_add_f32 v186, v200, v186 :: v_dual_add_f32 v177, v177, v0
	v_fmamk_f32 v200, v81, 0x3f763a35, v207
	v_dual_mul_f32 v47, 0xbf06c442, v47 :: v_dual_add_f32 v180, v180, v0
	v_dual_add_f32 v196, v203, v196 :: v_dual_add_f32 v177, v204, v177
	s_delay_alu instid0(VALU_DEP_3) | instskip(NEXT) | instid1(VALU_DEP_3)
	v_add_f32_e32 v186, v200, v186
	v_fmamk_f32 v204, v72, 0xbf59a7d5, v47
	s_delay_alu instid0(VALU_DEP_4) | instskip(SKIP_4) | instid1(VALU_DEP_4)
	v_add_f32_e32 v46, v46, v180
	v_fma_f32 v180, 0xbf59a7d5, v72, -v47
	v_fmamk_f32 v200, v71, 0xbe8c1d8e, v146
	v_fmac_f32_e32 v207, 0xbf763a35, v81
	v_dual_add_f32 v177, v204, v177 :: v_dual_fmamk_f32 v204, v74, 0x3f3d2fb0, v144
	v_add_f32_e32 v46, v180, v46
	v_fma_f32 v144, 0x3f3d2fb0, v74, -v144
	v_add_f32_e32 v78, v92, v96
	v_add_f32_e32 v16, v16, v26
	v_dual_add_f32 v177, v204, v177 :: v_dual_fmamk_f32 v204, v67, 0xbf1a4643, v145
	s_delay_alu instid0(VALU_DEP_4) | instskip(SKIP_1) | instid1(VALU_DEP_4)
	v_add_f32_e32 v144, v144, v46
	v_fma_f32 v145, 0xbf1a4643, v67, -v145
	v_dual_add_f32 v3, v25, v3 :: v_dual_add_f32 v16, v18, v16
	v_fma_f32 v25, 0xbe8c1d8e, v68, -v88
	s_delay_alu instid0(VALU_DEP_3) | instskip(SKIP_1) | instid1(VALU_DEP_4)
	v_add_f32_e32 v144, v145, v144
	v_fma_f32 v145, 0x3ee437d1, v68, -v147
	v_add_f32_e32 v16, v28, v16
	s_delay_alu instid0(VALU_DEP_2)
	v_add_f32_e32 v144, v145, v144
	v_fma_f32 v145, 0xbe8c1d8e, v71, -v146
	v_fma_f32 v146, 0xbf59a7d5, v69, -v184
	v_mul_f32_e32 v184, 0x3dbcf732, v118
	v_add_f32_e32 v118, v164, v1
	v_mul_f32_e32 v164, 0xbf59a7d5, v71
	v_add_f32_e32 v144, v145, v144
	v_add_f32_e32 v145, v146, v0
	v_fma_f32 v146, 0x3ee437d1, v70, -v187
	v_mul_f32_e32 v187, 0xbf1a4643, v68
	v_dual_add_f32 v177, v204, v177 :: v_dual_add_f32 v118, v165, v118
	v_mul_f32_e32 v165, 0xbf7ba420, v66
	s_delay_alu instid0(VALU_DEP_4) | instskip(SKIP_4) | instid1(VALU_DEP_3)
	v_add_f32_e32 v107, v146, v145
	v_mul_f32_e32 v146, 0x3f3d2fb0, v109
	v_fma_f32 v109, 0x3dbcf732, v72, -v190
	v_add_f32_e32 v118, v166, v118
	v_dual_mul_f32 v145, 0x3f3d2fb0, v70 :: v_dual_add_f32 v16, v30, v16
	v_add_f32_e32 v107, v109, v107
	v_fma_f32 v109, 0xbf1a4643, v74, -v192
	s_delay_alu instid0(VALU_DEP_1) | instskip(SKIP_2) | instid1(VALU_DEP_2)
	v_dual_add_f32 v16, v20, v16 :: v_dual_add_f32 v107, v109, v107
	v_fma_f32 v109, 0x3f6eb680, v67, -v189
	v_fmamk_f32 v204, v68, 0x3ee437d1, v147
	v_dual_add_f32 v16, v22, v16 :: v_dual_add_f32 v109, v109, v107
	s_delay_alu instid0(VALU_DEP_2) | instskip(NEXT) | instid1(VALU_DEP_2)
	v_dual_add_f32 v177, v204, v177 :: v_dual_mul_f32 v204, 0x3dbcf732, v122
	v_add_f32_e32 v12, v12, v16
	s_delay_alu instid0(VALU_DEP_2) | instskip(SKIP_2) | instid1(VALU_DEP_3)
	v_dual_add_f32 v177, v200, v177 :: v_dual_fmamk_f32 v200, v73, 0xbf7ee86f, v204
	v_fmac_f32_e32 v204, 0x3f7ee86f, v73
	v_fma_f32 v166, 0x3f3d2fb0, v71, -v194
	v_dual_add_f32 v12, v14, v12 :: v_dual_add_f32 v47, v200, v186
	v_add_f32_e32 v186, v202, v196
	v_fmac_f32_e32 v198, 0x3f2c7751, v81
	s_delay_alu instid0(VALU_DEP_3) | instskip(SKIP_1) | instid1(VALU_DEP_3)
	v_add_f32_e32 v8, v8, v12
	v_fma_f32 v12, 0x3f6eb680, v66, -v86
	v_dual_add_f32 v186, v205, v186 :: v_dual_add_f32 v117, v198, v173
	s_delay_alu instid0(VALU_DEP_3) | instskip(NEXT) | instid1(VALU_DEP_2)
	v_dual_mul_f32 v173, 0xbe8c1d8e, v67 :: v_dual_add_f32 v8, v10, v8
	v_dual_add_f32 v147, v206, v186 :: v_dual_mul_f32 v186, 0xbe8c1d8e, v120
	v_fma_f32 v120, 0xbf7ba420, v68, -v197
	s_delay_alu instid0(VALU_DEP_3) | instskip(NEXT) | instid1(VALU_DEP_3)
	v_sub_f32_e32 v16, v173, v55
	v_dual_add_f32 v4, v4, v8 :: v_dual_add_f32 v147, v207, v147
	v_sub_f32_e32 v8, v165, v61
	s_delay_alu instid0(VALU_DEP_4) | instskip(NEXT) | instid1(VALU_DEP_3)
	v_dual_add_f32 v109, v120, v109 :: v_dual_add_f32 v120, v167, v118
	v_dual_fmamk_f32 v180, v66, 0x3dbcf732, v143 :: v_dual_add_f32 v107, v204, v147
	v_fma_f32 v147, 0xbe8c1d8e, v70, -v172
	s_delay_alu instid0(VALU_DEP_3) | instskip(SKIP_2) | instid1(VALU_DEP_4)
	v_dual_add_f32 v118, v195, v117 :: v_dual_add_f32 v117, v168, v120
	v_fma_f32 v120, 0xbf59a7d5, v74, -v174
	v_add_f32_e32 v109, v166, v109
	v_add_f32_e32 v119, v147, v119
	v_fma_f32 v147, 0x3f6eb680, v72, -v176
	v_add_f32_e32 v46, v180, v177
	v_mul_f32_e32 v180, 0x3ee437d1, v72
	v_add_f32_e32 v166, v170, v117
	v_mul_f32_e32 v177, 0x3f6eb680, v69
	v_add_f32_e32 v119, v147, v119
	v_fma_f32 v147, 0xbe8c1d8e, v66, -v199
	v_add_f32_e32 v3, v27, v3
	v_fma_f32 v143, 0x3dbcf732, v66, -v143
	s_delay_alu instid0(VALU_DEP_4)
	v_dual_sub_f32 v18, v177, v48 :: v_dual_add_f32 v119, v120, v119
	v_fma_f32 v120, 0x3dbcf732, v67, -v179
	v_add_f32_e32 v117, v147, v109
	v_add_f32_e32 v147, v155, v1
	v_fma_f32 v155, 0xbe8c1d8e, v69, -v156
	v_add_f32_e32 v3, v17, v3
	v_add_f32_e32 v119, v120, v119
	v_fma_f32 v120, 0x3f3d2fb0, v68, -v182
	v_add_f32_e32 v147, v151, v147
	v_add_f32_e32 v151, v155, v0
	v_fma_f32 v155, 0xbf59a7d5, v70, -v157
	s_delay_alu instid0(VALU_DEP_4) | instskip(SKIP_3) | instid1(VALU_DEP_3)
	v_dual_mul_f32 v122, 0xbf7ba420, v122 :: v_dual_add_f32 v119, v120, v119
	v_fma_f32 v120, 0xbf7ba420, v71, -v185
	v_add_f32_e32 v147, v152, v147
	v_fma_f32 v17, 0x3ee437d1, v71, -v87
	v_add_f32_e32 v152, v120, v119
	v_add_f32_e32 v119, v155, v151
	v_fma_f32 v120, 0x3f3d2fb0, v72, -v158
	v_dual_add_f32 v147, v153, v147 :: v_dual_add_f32 v10, v63, v122
	v_fma_f32 v151, 0x3ee437d1, v66, -v191
	s_delay_alu instid0(VALU_DEP_3) | instskip(SKIP_1) | instid1(VALU_DEP_4)
	v_add_f32_e32 v119, v120, v119
	v_fma_f32 v120, 0x3ee437d1, v74, -v159
	v_add_f32_e32 v147, v148, v147
	s_delay_alu instid0(VALU_DEP_2) | instskip(SKIP_1) | instid1(VALU_DEP_3)
	v_add_f32_e32 v119, v120, v119
	v_fma_f32 v120, 0xbf7ba420, v67, -v160
	v_add_f32_e32 v147, v149, v147
	v_add_f32_e32 v109, v171, v166
	;; [unrolled: 1-line block ×3, first 2 shown]
	s_delay_alu instid0(VALU_DEP_4) | instskip(SKIP_1) | instid1(VALU_DEP_3)
	v_add_f32_e32 v119, v120, v119
	v_fma_f32 v120, 0x3dbcf732, v68, -v161
	v_add_f32_e32 v1, v27, v1
	s_delay_alu instid0(VALU_DEP_2) | instskip(SKIP_1) | instid1(VALU_DEP_1)
	v_add_f32_e32 v119, v120, v119
	v_add_f32_e32 v130, v150, v147
	v_dual_add_f32 v119, v131, v119 :: v_dual_add_f32 v120, v154, v130
	v_fma_f32 v130, 0x3dbcf732, v69, -v135
	v_fma_f32 v131, 0xbf7ba420, v70, -v136
	;; [unrolled: 1-line block ×3, first 2 shown]
	s_delay_alu instid0(VALU_DEP_4)
	v_add_f32_e32 v119, v129, v119
	v_fma_f32 v129, 0xbe8c1d8e, v72, -v132
	v_add_f32_e32 v130, v130, v0
	v_fma_f32 v70, 0x3dbcf732, v70, -v95
	v_add_f32_e32 v69, v69, v0
	v_add_f32_e32 v75, v112, v111
	v_fma_f32 v72, 0xbf1a4643, v72, -v94
	v_add_f32_e32 v127, v131, v130
	v_dual_fmac_f32 v91, 0xbe3c28d5, v77 :: v_dual_add_f32 v0, v18, v0
	v_dual_sub_f32 v18, v145, v49 :: v_dual_add_f32 v3, v19, v3
	s_delay_alu instid0(VALU_DEP_3) | instskip(SKIP_1) | instid1(VALU_DEP_4)
	v_add_f32_e32 v125, v129, v127
	v_fma_f32 v127, 0x3f6eb680, v74, -v141
	v_dual_add_f32 v77, v91, v78 :: v_dual_add_f32 v78, v70, v69
	v_dual_add_f32 v75, v104, v75 :: v_dual_add_f32 v70, v99, v100
	s_delay_alu instid0(VALU_DEP_3) | instskip(SKIP_1) | instid1(VALU_DEP_4)
	v_add_f32_e32 v124, v127, v125
	v_fma_f32 v125, 0x3ee437d1, v67, -v142
	v_add_f32_e32 v72, v72, v78
	s_delay_alu instid0(VALU_DEP_4) | instskip(SKIP_4) | instid1(VALU_DEP_4)
	v_add_f32_e32 v75, v76, v75
	v_fma_f32 v76, 0x3f6eb680, v68, -v116
	v_fma_f32 v74, 0xbf7ba420, v74, -v93
	v_add_f32_e32 v106, v125, v124
	v_fma_f32 v67, 0xbf59a7d5, v67, -v85
	v_dual_add_f32 v0, v18, v0 :: v_dual_add_f32 v75, v76, v75
	s_delay_alu instid0(VALU_DEP_3) | instskip(SKIP_2) | instid1(VALU_DEP_3)
	v_dual_add_f32 v72, v74, v72 :: v_dual_add_f32 v103, v123, v106
	v_fma_f32 v106, 0xbf1a4643, v71, -v134
	v_fma_f32 v76, 0x3dbcf732, v71, -v108
	v_dual_add_f32 v3, v29, v3 :: v_dual_add_f32 v24, v67, v72
	v_fmac_f32_e32 v83, 0x3f65296c, v81
	s_delay_alu instid0(VALU_DEP_4) | instskip(NEXT) | instid1(VALU_DEP_4)
	v_add_f32_e32 v103, v106, v103
	v_add_f32_e32 v75, v76, v75
	v_fma_f32 v76, 0xbf59a7d5, v66, -v110
	v_dual_add_f32 v24, v25, v24 :: v_dual_add_f32 v25, v52, v146
	v_dual_add_f32 v19, v54, v181 :: v_dual_sub_f32 v18, v180, v51
	s_delay_alu instid0(VALU_DEP_3) | instskip(NEXT) | instid1(VALU_DEP_3)
	v_add_f32_e32 v69, v76, v75
	v_add_f32_e32 v17, v17, v24
	s_delay_alu instid0(VALU_DEP_4) | instskip(NEXT) | instid1(VALU_DEP_4)
	v_add_f32_e32 v1, v25, v1
	v_dual_add_f32 v3, v31, v3 :: v_dual_add_f32 v0, v18, v0
	v_sub_f32_e32 v18, v183, v53
	v_add_f32_e32 v109, v175, v109
	s_delay_alu instid0(VALU_DEP_4) | instskip(SKIP_1) | instid1(VALU_DEP_4)
	v_add_f32_e32 v1, v19, v1
	v_add_f32_e32 v19, v56, v184
	v_dual_add_f32 v3, v21, v3 :: v_dual_add_f32 v0, v18, v0
	v_dual_add_f32 v77, v90, v77 :: v_dual_add_f32 v106, v143, v144
	s_delay_alu instid0(VALU_DEP_3) | instskip(NEXT) | instid1(VALU_DEP_3)
	v_add_f32_e32 v1, v19, v1
	v_add_f32_e32 v3, v23, v3
	s_delay_alu instid0(VALU_DEP_4) | instskip(NEXT) | instid1(VALU_DEP_4)
	v_dual_add_f32 v19, v58, v186 :: v_dual_add_f32 v0, v16, v0
	v_add_f32_e32 v75, v89, v77
	v_add_f32_e32 v104, v101, v103
	s_delay_alu instid0(VALU_DEP_4) | instskip(NEXT) | instid1(VALU_DEP_4)
	v_add_f32_e32 v3, v13, v3
	v_add_f32_e32 v1, v19, v1
	s_delay_alu instid0(VALU_DEP_4) | instskip(SKIP_1) | instid1(VALU_DEP_2)
	v_dual_add_f32 v13, v60, v188 :: v_dual_add_f32 v74, v83, v75
	v_add_f32_e32 v108, v151, v152
	v_dual_add_f32 v3, v15, v3 :: v_dual_add_f32 v2, v82, v74
	s_delay_alu instid0(VALU_DEP_1) | instskip(NEXT) | instid1(VALU_DEP_1)
	v_add_f32_e32 v3, v9, v3
	v_add_f32_e32 v3, v11, v3
	s_delay_alu instid0(VALU_DEP_1) | instskip(SKIP_1) | instid1(VALU_DEP_2)
	v_add_f32_e32 v3, v5, v3
	v_mul_lo_u16 v5, v250, 17
	v_add_f32_e32 v7, v7, v3
	v_sub_f32_e32 v9, v187, v57
	s_delay_alu instid0(VALU_DEP_3) | instskip(SKIP_1) | instid1(VALU_DEP_3)
	v_and_b32_e32 v11, 0xffff, v5
	v_add_f32_e32 v1, v13, v1
	v_dual_add_f32 v0, v9, v0 :: v_dual_sub_f32 v9, v164, v59
	s_delay_alu instid0(VALU_DEP_1) | instskip(SKIP_1) | instid1(VALU_DEP_2)
	v_dual_add_f32 v13, v62, v121 :: v_dual_add_f32 v0, v9, v0
	v_dual_add_f32 v9, v6, v4 :: v_dual_add_f32 v6, v33, v7
	v_dual_add_f32 v3, v8, v0 :: v_dual_lshlrev_b32 v0, 3, v11
	s_delay_alu instid0(VALU_DEP_3) | instskip(NEXT) | instid1(VALU_DEP_3)
	v_add_f32_e32 v1, v13, v1
	v_add_f32_e32 v5, v32, v9
	s_delay_alu instid0(VALU_DEP_2)
	v_add_f32_e32 v4, v10, v1
	v_add_f32_e32 v1, v12, v17
	ds_store_2addr_b64 v0, v[5:6], v[3:4] offset1:1
	ds_store_2addr_b64 v0, v[1:2], v[69:70] offset0:2 offset1:3
	ds_store_2addr_b64 v0, v[104:105], v[119:120] offset0:4 offset1:5
	ds_store_2addr_b64 v0, v[108:109], v[117:118] offset0:6 offset1:7
	ds_store_2addr_b64 v0, v[106:107], v[46:47] offset0:8 offset1:9
	ds_store_2addr_b64 v0, v[44:45], v[42:43] offset0:10 offset1:11
	ds_store_2addr_b64 v0, v[40:41], v[38:39] offset0:12 offset1:13
	ds_store_2addr_b64 v0, v[36:37], v[34:35] offset0:14 offset1:15
	ds_store_b64 v0, v[64:65] offset:128
.LBB0_7:
	s_wait_alu 0xfffe
	s_or_b32 exec_lo, exec_lo, s0
	v_and_b32_e32 v2, 0xff, v250
	v_add_nc_u16 v1, v250, 0xee
	v_add_nc_u16 v8, v250, 0x77
	v_add_co_u32 v42, null, 0x165, v250
	s_delay_alu instid0(VALU_DEP_4) | instskip(NEXT) | instid1(VALU_DEP_4)
	v_mul_lo_u16 v14, 0xf1, v2
	v_and_b32_e32 v3, 0xffff, v1
	s_delay_alu instid0(VALU_DEP_4)
	v_and_b32_e32 v0, 0xff, v8
	s_load_b128 s[4:7], s[4:5], 0x0
	global_wb scope:SCOPE_SE
	s_wait_dscnt 0x0
	v_lshrrev_b16 v45, 12, v14
	v_mul_u32_u24_e32 v2, 0xf0f1, v3
	v_mul_lo_u16 v43, 0xf1, v0
	s_wait_kmcnt 0x0
	s_barrier_signal -1
	s_barrier_wait -1
	v_mul_lo_u16 v3, v45, 17
	v_lshrrev_b32_e32 v48, 20, v2
	v_lshrrev_b16 v46, 12, v43
	global_inv scope:SCOPE_SE
	v_add_co_u32 v44, null, 0x1dc, v250
	v_sub_nc_u16 v3, v250, v3
	v_mul_lo_u16 v4, v46, 17
	v_mul_lo_u16 v5, v48, 17
	v_add_co_u32 v47, null, 0x253, v250
	s_delay_alu instid0(VALU_DEP_4) | instskip(NEXT) | instid1(VALU_DEP_4)
	v_and_b32_e32 v52, 0xff, v3
	v_sub_nc_u16 v4, v8, v4
	s_delay_alu instid0(VALU_DEP_4) | instskip(SKIP_1) | instid1(VALU_DEP_4)
	v_sub_nc_u16 v51, v1, v5
	v_add_co_u32 v49, null, 0x2ca, v250
	v_lshlrev_b32_e32 v6, 3, v52
	s_delay_alu instid0(VALU_DEP_4)
	v_and_b32_e32 v53, 0xff, v4
	v_and_b32_e32 v4, 0xffff, v44
	;; [unrolled: 1-line block ×3, first 2 shown]
	v_add_co_u32 v50, null, 0x341, v250
	global_load_b64 v[95:96], v6, s[2:3]
	v_and_b32_e32 v3, 0xffff, v42
	v_mul_u32_u24_e32 v55, 0xf0f1, v4
	v_lshlrev_b32_e32 v4, 3, v5
	v_and_b32_e32 v5, 0xffff, v47
	v_and_b32_e32 v7, 0xffff, v49
	v_mul_u32_u24_e32 v54, 0xf0f1, v3
	v_lshrrev_b32_e32 v57, 20, v55
	v_and_b32_e32 v9, 0xffff, v50
	v_mul_u32_u24_e32 v58, 0xf0f1, v5
	v_mul_u32_u24_e32 v59, 0xf0f1, v7
	v_lshrrev_b32_e32 v56, 20, v54
	v_mul_lo_u16 v7, v57, 17
	v_mul_u32_u24_e32 v60, 0xf0f1, v9
	v_lshrrev_b32_e32 v61, 20, v58
	v_lshrrev_b32_e32 v63, 20, v59
	v_mul_lo_u16 v5, v56, 17
	v_sub_nc_u16 v66, v44, v7
	v_lshrrev_b32_e32 v67, 20, v60
	v_lshlrev_b32_e32 v3, 3, v53
	v_mul_lo_u16 v9, v63, 17
	v_sub_nc_u16 v62, v42, v5
	v_mul_lo_u16 v5, v61, 17
	v_mul_lo_u16 v11, v67, 17
	v_and_b32_e32 v10, 0xffff, v66
	s_clause 0x1
	global_load_b64 v[97:98], v3, s[2:3]
	global_load_b64 v[99:100], v4, s[2:3]
	v_and_b32_e32 v7, 0xffff, v62
	v_sub_nc_u16 v68, v47, v5
	v_sub_nc_u16 v69, v49, v9
	;; [unrolled: 1-line block ×3, first 2 shown]
	v_mul_lo_u16 v45, v45, 34
	v_lshlrev_b32_e32 v5, 3, v7
	v_and_b32_e32 v7, 0xffff, v68
	v_and_b32_e32 v9, 0xffff, v69
	v_lshrrev_b16 v72, 13, v14
	v_and_b32_e32 v45, 0xfe, v45
	global_load_b64 v[93:94], v5, s[2:3]
	v_lshlrev_b32_e32 v6, 3, v10
	v_and_b32_e32 v3, 0xffff, v70
	v_lshlrev_b32_e32 v4, 3, v7
	v_lshlrev_b32_e32 v5, 3, v9
	v_lshrrev_b16 v43, 13, v43
	global_load_b64 v[91:92], v6, s[2:3]
	v_lshlrev_b32_e32 v3, 3, v3
	s_clause 0x2
	global_load_b64 v[89:90], v4, s[2:3]
	global_load_b64 v[87:88], v5, s[2:3]
	;; [unrolled: 1-line block ×3, first 2 shown]
	v_and_b32_e32 v3, 0xffff, v250
	v_add_lshl_u32 v147, v45, v52, 3
	v_mad_u16 v45, v48, 34, v51
	v_mad_u16 v51, v57, 34, v66
	;; [unrolled: 1-line block ×3, first 2 shown]
	v_lshlrev_b32_e32 v141, 3, v3
	v_mul_lo_u16 v75, v43, 34
	v_lshrrev_b32_e32 v74, 21, v2
	v_lshrrev_b32_e32 v54, 21, v54
	v_mad_u16 v48, v56, 34, v62
	v_add_nc_u32_e32 v71, 0x1c00, v141
	v_add_nc_u32_e32 v4, 0x400, v141
	;; [unrolled: 1-line block ×5, first 2 shown]
	ds_load_2addr_b64 v[10:13], v141 offset1:119
	v_add_nc_u32_e32 v6, 0x1400, v141
	v_add_nc_u32_e32 v3, 0x3000, v141
	ds_load_2addr_b64 v[14:17], v71 offset0:56 offset1:175
	ds_load_2addr_b64 v[18:21], v4 offset0:110 offset1:229
	;; [unrolled: 1-line block ×7, first 2 shown]
	v_and_b32_e32 v46, 0xffff, v46
	v_sub_nc_u16 v75, v8, v75
	v_mad_u16 v52, v61, 34, v68
	v_lshrrev_b32_e32 v55, 21, v55
	v_mul_lo_u16 v76, v74, 34
	v_mul_u32_u24_e32 v46, 34, v46
	v_mul_lo_u16 v77, v54, 34
	v_mad_u16 v56, v63, 34, v69
	v_mul_lo_u16 v78, v55, 34
	v_sub_nc_u16 v76, v1, v76
	v_add_lshl_u32 v151, v46, v53, 3
	v_and_b32_e32 v53, 0xffff, v57
	v_and_b32_e32 v46, 0xffff, v48
	v_sub_nc_u16 v42, v42, v77
	v_sub_nc_u16 v44, v44, v78
	v_and_b32_e32 v63, 0xffff, v76
	v_lshlrev_b32_e32 v148, 3, v53
	v_and_b32_e32 v45, 0xffff, v45
	v_lshrrev_b32_e32 v58, 21, v58
	v_lshrrev_b32_e32 v59, 21, v59
	v_lshrrev_b32_e32 v60, 21, v60
	v_lshlrev_b32_e32 v57, 3, v63
	v_mul_lo_u16 v73, v72, 34
	v_mul_lo_u16 v79, v58, 34
	;; [unrolled: 1-line block ×4, first 2 shown]
	global_wb scope:SCOPE_SE
	s_wait_loadcnt_dscnt 0x0
	v_sub_nc_u16 v73, v250, v73
	v_sub_nc_u16 v47, v47, v79
	v_sub_nc_u16 v49, v49, v80
	v_sub_nc_u16 v50, v50, v81
	s_barrier_signal -1
	v_and_b32_e32 v73, 0xff, v73
	s_barrier_wait -1
	global_inv scope:SCOPE_SE
	v_cmp_gt_u16_e64 s0, 34, v250
	v_lshlrev_b32_e32 v61, 3, v73
	v_dual_mul_f32 v53, v24, v94 :: v_dual_and_b32 v62, 0xff, v75
	s_delay_alu instid0(VALU_DEP_1) | instskip(SKIP_4) | instid1(VALU_DEP_4)
	v_dual_fmac_f32 v53, v25, v93 :: v_dual_and_b32 v48, 0xffff, v51
	v_and_b32_e32 v51, 0xffff, v52
	v_dual_mul_f32 v75, v30, v92 :: v_dual_and_b32 v66, 0xffff, v42
	v_mul_f32_e32 v78, v32, v90
	v_mul_f32_e32 v82, v40, v86
	v_dual_mul_f32 v51, v22, v100 :: v_dual_lshlrev_b32 v150, 3, v51
	s_delay_alu instid0(VALU_DEP_4) | instskip(NEXT) | instid1(VALU_DEP_4)
	v_dual_fmac_f32 v75, v31, v91 :: v_dual_and_b32 v52, 0xffff, v56
	v_dual_mul_f32 v63, v31, v92 :: v_dual_fmac_f32 v78, v33, v89
	s_delay_alu instid0(VALU_DEP_3) | instskip(NEXT) | instid1(VALU_DEP_3)
	v_fmac_f32_e32 v51, v23, v99
	v_dual_sub_f32 v31, v27, v75 :: v_dual_lshlrev_b32 v154, 3, v45
	v_mul_f32_e32 v45, v15, v96
	v_dual_mul_f32 v52, v25, v94 :: v_dual_lshlrev_b32 v149, 3, v52
	v_fmac_f32_e32 v82, v41, v85
	v_dual_sub_f32 v25, v21, v53 :: v_dual_lshlrev_b32 v152, 3, v48
	v_mul_f32_e32 v48, v23, v100
	v_sub_f32_e32 v23, v19, v51
	v_dual_mul_f32 v46, v14, v96 :: v_dual_lshlrev_b32 v153, 3, v46
	v_fma_f32 v14, v14, v95, -v45
	v_mul_f32_e32 v45, v16, v98
	v_mul_f32_e32 v77, v33, v90
	;; [unrolled: 1-line block ×3, first 2 shown]
	v_dual_fmac_f32 v46, v15, v95 :: v_dual_mul_f32 v15, v17, v98
	v_dual_mul_f32 v80, v38, v88 :: v_dual_mul_f32 v81, v41, v86
	v_fmac_f32_e32 v45, v17, v97
	v_fma_f32 v22, v22, v99, -v48
	s_delay_alu instid0(VALU_DEP_4)
	v_fma_f32 v16, v16, v97, -v15
	v_fma_f32 v24, v24, v93, -v52
	;; [unrolled: 1-line block ×3, first 2 shown]
	v_dual_sub_f32 v15, v11, v46 :: v_dual_and_b32 v68, 0xffff, v47
	v_fma_f32 v32, v32, v89, -v77
	v_fma_f32 v38, v38, v87, -v79
	v_sub_f32_e32 v14, v10, v14
	v_fmac_f32_e32 v80, v39, v87
	v_fma_f32 v40, v40, v85, -v81
	v_dual_sub_f32 v17, v13, v45 :: v_dual_and_b32 v70, 0xffff, v50
	v_sub_f32_e32 v16, v12, v16
	v_sub_f32_e32 v22, v18, v22
	;; [unrolled: 1-line block ×4, first 2 shown]
	v_dual_sub_f32 v39, v35, v80 :: v_dual_lshlrev_b32 v56, 3, v62
	v_fma_f32 v10, v10, 2.0, -v14
	v_fma_f32 v11, v11, 2.0, -v15
	v_dual_sub_f32 v32, v28, v32 :: v_dual_sub_f32 v33, v29, v78
	v_sub_f32_e32 v38, v34, v38
	v_dual_sub_f32 v40, v36, v40 :: v_dual_sub_f32 v41, v37, v82
	v_fma_f32 v12, v12, 2.0, -v16
	v_fma_f32 v13, v13, 2.0, -v17
	;; [unrolled: 1-line block ×14, first 2 shown]
	ds_store_2addr_b64 v147, v[10:11], v[14:15] offset1:17
	ds_store_2addr_b64 v151, v[12:13], v[16:17] offset1:17
	ds_store_2addr_b64 v154, v[18:19], v[22:23] offset1:17
	ds_store_2addr_b64 v153, v[20:21], v[24:25] offset1:17
	ds_store_2addr_b64 v152, v[26:27], v[30:31] offset1:17
	ds_store_2addr_b64 v150, v[28:29], v[32:33] offset1:17
	ds_store_2addr_b64 v149, v[34:35], v[38:39] offset1:17
	ds_store_2addr_b64 v148, v[36:37], v[40:41] offset1:17
	global_wb scope:SCOPE_SE
	s_wait_dscnt 0x0
	s_barrier_signal -1
	s_barrier_wait -1
	global_inv scope:SCOPE_SE
	global_load_b64 v[115:116], v61, s[2:3] offset:136
	v_lshlrev_b32_e32 v10, 3, v66
	s_clause 0x1
	global_load_b64 v[111:112], v56, s[2:3] offset:136
	global_load_b64 v[113:114], v57, s[2:3] offset:136
	v_and_b32_e32 v67, 0xffff, v44
	v_mad_u16 v13, 0x44, v55, v44
	global_load_b64 v[109:110], v10, s[2:3] offset:136
	v_mad_u16 v14, 0x44, v58, v47
	v_mad_u16 v15, 0x44, v59, v49
	v_lshlrev_b32_e32 v11, 3, v67
	v_and_b32_e32 v19, 0xffff, v13
	v_mad_u16 v16, 0x44, v60, v50
	v_add_nc_u32_e32 v45, 0x2000, v141
	global_load_b64 v[107:108], v11, s[2:3] offset:136
	v_and_b32_e32 v69, 0xffff, v49
	v_lshlrev_b32_e32 v12, 3, v68
	v_lshlrev_b32_e32 v11, 3, v70
	v_and_b32_e32 v20, 0xffff, v14
	v_and_b32_e32 v23, 0xffff, v16
	v_lshlrev_b32_e32 v10, 3, v69
	s_clause 0x2
	global_load_b64 v[105:106], v12, s[2:3] offset:136
	global_load_b64 v[103:104], v10, s[2:3] offset:136
	;; [unrolled: 1-line block ×3, first 2 shown]
	v_mul_lo_u16 v10, 0x44, v72
	v_and_b32_e32 v11, 0xffff, v43
	v_mad_u16 v12, 0x44, v54, v42
	v_and_b32_e32 v22, 0xffff, v15
	v_lshlrev_b32_e32 v158, 3, v19
	v_and_b32_e32 v10, 0xfc, v10
	v_mul_u32_u24_e32 v11, 0x44, v11
	v_and_b32_e32 v18, 0xffff, v12
	v_lshlrev_b32_e32 v157, 3, v20
	v_lshlrev_b32_e32 v155, 3, v23
	v_add_lshl_u32 v159, v10, v73, 3
	v_mad_u16 v10, 0x44, v74, v76
	v_add_lshl_u32 v160, v11, v62, 3
	v_add_nc_u32_e32 v43, 0x1800, v141
                                        ; implicit-def: $vgpr70
                                        ; implicit-def: $vgpr72
                                        ; implicit-def: $vgpr76
                                        ; implicit-def: $vgpr74
	s_delay_alu instid0(VALU_DEP_3)
	v_and_b32_e32 v17, 0xffff, v10
	ds_load_2addr_b64 v[10:13], v71 offset0:56 offset1:175
	v_lshlrev_b32_e32 v252, 3, v17
	s_wait_loadcnt_dscnt 0x700
	v_mul_f32_e32 v38, v10, v116
	ds_load_2addr_b64 v[14:17], v9 offset0:38 offset1:157
	v_mul_f32_e32 v9, v11, v116
	s_wait_loadcnt 0x6
	v_mul_f32_e32 v42, v12, v112
	v_dual_mul_f32 v39, v13, v112 :: v_dual_fmac_f32 v38, v11, v115
	s_delay_alu instid0(VALU_DEP_3) | instskip(NEXT) | instid1(VALU_DEP_3)
	v_fma_f32 v9, v10, v115, -v9
	v_fmac_f32_e32 v42, v13, v111
	s_delay_alu instid0(VALU_DEP_3)
	v_fma_f32 v11, v12, v111, -v39
	s_wait_loadcnt_dscnt 0x400
	v_mul_f32_e32 v49, v16, v110
	v_mul_f32_e32 v44, v15, v114
	;; [unrolled: 1-line block ×4, first 2 shown]
	s_delay_alu instid0(VALU_DEP_4)
	v_fmac_f32_e32 v49, v17, v109
	v_lshlrev_b32_e32 v251, 3, v18
	ds_load_2addr_b64 v[18:21], v7 offset0:20 offset1:139
	v_add_nc_u32_e32 v40, 0x800, v141
	v_fma_f32 v13, v14, v113, -v44
	v_fmac_f32_e32 v46, v15, v113
	v_fma_f32 v15, v16, v109, -v47
	s_wait_loadcnt_dscnt 0x200
	v_dual_mul_f32 v53, v20, v106 :: v_dual_mul_f32 v50, v19, v108
	v_dual_mul_f32 v51, v18, v108 :: v_dual_mul_f32 v52, v21, v106
	s_delay_alu instid0(VALU_DEP_2)
	v_dual_fmac_f32 v53, v21, v105 :: v_dual_lshlrev_b32 v156, 3, v22
	ds_load_2addr_b64 v[22:25], v141 offset1:119
	ds_load_2addr_b64 v[26:29], v3 offset0:130 offset1:249
	ds_load_2addr_b64 v[30:33], v4 offset0:110 offset1:229
	;; [unrolled: 1-line block ×4, first 2 shown]
	v_add_nc_u32_e32 v48, 0x2800, v141
	v_fma_f32 v17, v18, v107, -v50
	v_fmac_f32_e32 v51, v19, v107
	v_fma_f32 v19, v20, v105, -v52
	global_wb scope:SCOPE_SE
	s_wait_loadcnt_dscnt 0x0
	s_barrier_signal -1
	s_barrier_wait -1
	global_inv scope:SCOPE_SE
	v_sub_f32_e32 v9, v22, v9
	v_dual_mul_f32 v57, v28, v102 :: v_dual_mul_f32 v54, v27, v104
	v_dual_mul_f32 v55, v26, v104 :: v_dual_mul_f32 v56, v29, v102
	s_delay_alu instid0(VALU_DEP_2) | instskip(NEXT) | instid1(VALU_DEP_3)
	v_dual_sub_f32 v10, v23, v38 :: v_dual_fmac_f32 v57, v29, v101
	v_fma_f32 v21, v26, v103, -v54
	s_delay_alu instid0(VALU_DEP_3) | instskip(NEXT) | instid1(VALU_DEP_4)
	v_fmac_f32_e32 v55, v27, v103
	v_fma_f32 v28, v28, v101, -v56
	v_dual_sub_f32 v11, v24, v11 :: v_dual_sub_f32 v12, v25, v42
	v_dual_sub_f32 v13, v30, v13 :: v_dual_sub_f32 v14, v31, v46
	;; [unrolled: 1-line block ×4, first 2 shown]
	v_dual_sub_f32 v68, v6, v28 :: v_dual_add_nc_u32 v41, 0x1000, v141
	v_dual_sub_f32 v19, v36, v19 :: v_dual_sub_f32 v20, v37, v53
	v_dual_sub_f32 v26, v4, v21 :: v_dual_sub_f32 v27, v5, v55
	v_sub_f32_e32 v69, v7, v57
	v_fma_f32 v21, v22, 2.0, -v9
	v_fma_f32 v22, v23, 2.0, -v10
	;; [unrolled: 1-line block ×16, first 2 shown]
	ds_store_2addr_b64 v159, v[21:22], v[9:10] offset1:34
	ds_store_2addr_b64 v160, v[23:24], v[11:12] offset1:34
	;; [unrolled: 1-line block ×8, first 2 shown]
	global_wb scope:SCOPE_SE
	s_wait_dscnt 0x0
	s_barrier_signal -1
	s_barrier_wait -1
	global_inv scope:SCOPE_SE
	ds_load_2addr_b64 v[36:39], v141 offset1:119
	ds_load_2addr_b64 v[60:63], v40 offset0:16 offset1:135
	ds_load_2addr_b64 v[56:59], v41 offset0:32 offset1:151
	;; [unrolled: 1-line block ×6, first 2 shown]
	s_and_saveexec_b32 s1, s0
	s_cbranch_execz .LBB0_9
; %bb.8:
	ds_load_b64 v[66:67], v141 offset:1904
	ds_load_b64 v[68:69], v141 offset:4080
	;; [unrolled: 1-line block ×7, first 2 shown]
.LBB0_9:
	s_wait_alu 0xfffe
	s_or_b32 exec_lo, exec_lo, s1
	v_add_nc_u32_e32 v3, 0xffffffbc, v250
	v_cmp_gt_u16_e64 s1, 0x44, v250
	v_lshrrev_b32_e32 v5, 22, v2
	v_mul_lo_u16 v0, 0x79, v0
	s_wait_alu 0xf1ff
	s_delay_alu instid0(VALU_DEP_3) | instskip(NEXT) | instid1(VALU_DEP_2)
	v_cndmask_b32_e64 v78, v3, v250, s1
	v_lshrrev_b16 v80, 13, v0
	s_delay_alu instid0(VALU_DEP_2) | instskip(SKIP_1) | instid1(VALU_DEP_3)
	v_mul_i32_i24_e32 v3, 48, v78
	v_mul_hi_i32_i24_e32 v4, 48, v78
	v_mul_lo_u16 v11, 0x44, v80
	s_delay_alu instid0(VALU_DEP_3) | instskip(SKIP_1) | instid1(VALU_DEP_3)
	v_add_co_u32 v2, s1, s2, v3
	s_wait_alu 0xf1ff
	v_add_co_ci_u32_e64 v3, s1, s3, v4, s1
	v_mul_lo_u16 v4, 0x44, v5
	v_sub_nc_u16 v12, v8, v11
	s_clause 0x1
	global_load_b128 v[32:35], v[2:3], off offset:408
	global_load_b128 v[28:31], v[2:3], off offset:424
	v_sub_nc_u16 v79, v1, v4
	global_load_b128 v[20:23], v[2:3], off offset:440
	v_and_b32_e32 v81, 0xff, v12
	v_and_b32_e32 v80, 0xffff, v80
	v_mul_lo_u16 v1, v79, 48
	s_delay_alu instid0(VALU_DEP_2) | instskip(NEXT) | instid1(VALU_DEP_2)
	v_mul_u32_u24_e32 v80, 0x1dc, v80
	v_and_b32_e32 v1, 0xffff, v1
	s_delay_alu instid0(VALU_DEP_1)
	v_add_co_u32 v9, s1, s2, v1
	s_wait_alu 0xf1ff
	v_add_co_ci_u32_e64 v10, null, s3, 0, s1
	v_cmp_lt_u16_e64 s1, 0x43, v250
	s_clause 0x2
	global_load_b128 v[4:7], v[9:10], off offset:408
	global_load_b128 v[0:3], v[9:10], off offset:424
	global_load_b128 v[8:11], v[9:10], off offset:440
	s_wait_alu 0xf1ff
	v_cndmask_b32_e64 v82, 0, 0x1dc, s1
	v_and_b32_e32 v253, 0xffff, v79
	s_delay_alu instid0(VALU_DEP_2) | instskip(NEXT) | instid1(VALU_DEP_1)
	v_add_lshl_u32 v255, v78, v82, 3
	v_add_nc_u32_e32 v78, 0x800, v255
	s_wait_loadcnt_dscnt 0x504
	v_mul_f32_e32 v82, v57, v35
	s_wait_loadcnt_dscnt 0x403
	v_mul_f32_e32 v117, v53, v29
	v_mul_f32_e32 v118, v52, v29
	v_mad_co_u64_u32 v[12:13], null, v81, 48, s[2:3]
	v_mul_f32_e32 v83, v56, v35
	s_wait_loadcnt_dscnt 0x301
	v_mul_f32_e32 v122, v40, v21
	v_fmac_f32_e32 v118, v53, v28
	s_clause 0x2
	global_load_b128 v[24:27], v[12:13], off offset:408
	global_load_b128 v[16:19], v[12:13], off offset:424
	;; [unrolled: 1-line block ×3, first 2 shown]
	v_add_lshl_u32 v254, v80, v81, 3
	v_mul_f32_e32 v80, v61, v33
	v_mul_f32_e32 v81, v60, v33
	s_wait_dscnt 0x0
	v_dual_mul_f32 v121, v41, v21 :: v_dual_mul_f32 v124, v48, v23
	v_fma_f32 v56, v56, v34, -v82
	v_fmac_f32_e32 v83, v57, v34
	v_dual_fmac_f32 v122, v41, v20 :: v_dual_add_nc_u32 v79, 0x800, v254
	v_mul_f32_e32 v120, v44, v31
	v_mul_f32_e32 v119, v45, v31
	v_fma_f32 v60, v60, v32, -v80
	s_wait_loadcnt 0x4
	v_dual_fmac_f32 v81, v61, v32 :: v_dual_mul_f32 v80, v75, v3
	v_dual_mul_f32 v57, v71, v1 :: v_dual_mul_f32 v82, v74, v3
	v_mul_f32_e32 v123, v49, v23
	v_dual_fmac_f32 v124, v49, v22 :: v_dual_mul_f32 v61, v70, v1
	v_fma_f32 v52, v52, v28, -v117
	v_dual_fmac_f32 v120, v45, v30 :: v_dual_mul_f32 v53, v64, v7
	s_delay_alu instid0(VALU_DEP_4)
	v_fma_f32 v41, v48, v22, -v123
	v_fma_f32 v40, v40, v20, -v121
	v_mul_f32_e32 v48, v68, v5
	v_fma_f32 v44, v44, v30, -v119
	s_wait_loadcnt 0x3
	v_dual_mul_f32 v119, v72, v9 :: v_dual_add_f32 v126, v81, v124
	v_mul_f32_e32 v123, v76, v11
	v_add_f32_e32 v125, v60, v41
	v_dual_sub_f32 v41, v60, v41 :: v_dual_sub_f32 v60, v81, v124
	v_dual_add_f32 v124, v83, v122 :: v_dual_mul_f32 v45, v69, v5
	v_mul_f32_e32 v49, v65, v7
	v_mul_f32_e32 v117, v73, v9
	;; [unrolled: 1-line block ×3, first 2 shown]
	v_add_f32_e32 v81, v56, v40
	v_sub_f32_e32 v40, v56, v40
	v_dual_sub_f32 v56, v83, v122 :: v_dual_add_f32 v83, v52, v44
	v_add_f32_e32 v122, v118, v120
	v_sub_f32_e32 v44, v44, v52
	v_sub_f32_e32 v52, v120, v118
	v_fma_f32 v57, v70, v0, -v57
	v_dual_fmac_f32 v61, v71, v0 :: v_dual_add_f32 v70, v124, v126
	v_fma_f32 v45, v68, v4, -v45
	v_fma_f32 v49, v64, v6, -v49
	v_fmac_f32_e32 v53, v65, v6
	v_fma_f32 v64, v74, v2, -v80
	v_dual_fmac_f32 v82, v75, v2 :: v_dual_fmac_f32 v119, v73, v8
	v_fma_f32 v65, v72, v8, -v117
	v_fma_f32 v68, v76, v10, -v121
	v_sub_f32_e32 v76, v122, v124
	global_wb scope:SCOPE_SE
	s_wait_loadcnt 0x0
	s_barrier_signal -1
	s_barrier_wait -1
	global_inv scope:SCOPE_SE
	v_sub_f32_e32 v74, v126, v122
	v_fmac_f32_e32 v48, v69, v4
	v_sub_f32_e32 v72, v124, v126
	v_mul_f32_e32 v118, v63, v25
	v_dual_mul_f32 v120, v62, v25 :: v_dual_mul_f32 v127, v59, v27
	v_dual_mul_f32 v128, v58, v27 :: v_dual_mul_f32 v129, v55, v17
	v_mul_f32_e32 v136, v50, v15
	v_dual_mul_f32 v132, v46, v19 :: v_dual_mul_f32 v133, v43, v13
	v_dual_mul_f32 v134, v42, v13 :: v_dual_mul_f32 v135, v51, v15
	;; [unrolled: 1-line block ×3, first 2 shown]
	v_dual_fmac_f32 v123, v77, v10 :: v_dual_add_f32 v80, v52, v56
	v_add_f32_e32 v69, v81, v125
	v_sub_f32_e32 v71, v81, v125
	v_sub_f32_e32 v73, v125, v83
	;; [unrolled: 1-line block ×3, first 2 shown]
	v_dual_add_f32 v77, v44, v40 :: v_dual_fmac_f32 v128, v59, v26
	v_dual_sub_f32 v81, v44, v40 :: v_dual_fmac_f32 v132, v47, v18
	v_dual_sub_f32 v117, v52, v56 :: v_dual_fmac_f32 v136, v51, v14
	v_dual_sub_f32 v40, v40, v41 :: v_dual_mul_f32 v59, 0x3f4a47b2, v74
	v_dual_sub_f32 v56, v56, v60 :: v_dual_add_f32 v47, v83, v69
	v_fma_f32 v62, v62, v24, -v118
	v_fmac_f32_e32 v120, v63, v24
	v_fma_f32 v58, v58, v26, -v127
	v_fma_f32 v42, v42, v12, -v133
	v_dual_fmac_f32 v134, v43, v12 :: v_dual_mul_f32 v69, 0xbf08b237, v81
	v_fma_f32 v43, v50, v14, -v135
	v_dual_add_f32 v50, v122, v70 :: v_dual_add_f32 v51, v80, v60
	v_sub_f32_e32 v44, v41, v44
	v_sub_f32_e32 v52, v60, v52
	v_fma_f32 v54, v54, v16, -v129
	v_dual_fmac_f32 v130, v55, v16 :: v_dual_mul_f32 v55, 0x3f4a47b2, v73
	v_fma_f32 v46, v46, v18, -v131
	v_dual_add_f32 v41, v77, v41 :: v_dual_mul_f32 v60, 0x3d64c772, v75
	v_mul_f32_e32 v63, 0x3d64c772, v76
	v_dual_mul_f32 v70, 0xbf08b237, v117 :: v_dual_add_f32 v77, v45, v68
	v_dual_mul_f32 v73, 0x3f5ff5aa, v40 :: v_dual_add_f32 v80, v48, v123
	;; [unrolled: 1-line block ×3, first 2 shown]
	v_dual_sub_f32 v45, v45, v68 :: v_dual_sub_f32 v48, v48, v123
	v_dual_add_f32 v68, v49, v65 :: v_dual_sub_f32 v117, v120, v136
	v_sub_f32_e32 v49, v49, v65
	v_sub_f32_e32 v53, v53, v119
	v_add_f32_e32 v65, v57, v64
	v_dual_add_f32 v83, v61, v82 :: v_dual_add_f32 v122, v130, v132
	v_dual_sub_f32 v57, v64, v57 :: v_dual_add_f32 v118, v58, v42
	v_sub_f32_e32 v61, v82, v61
	v_add_f32_e32 v64, v62, v43
	v_add_f32_e32 v82, v120, v136
	v_sub_f32_e32 v120, v128, v134
	v_dual_sub_f32 v62, v62, v43 :: v_dual_add_f32 v119, v128, v134
	v_add_f32_e32 v43, v37, v50
	v_dual_sub_f32 v58, v58, v42 :: v_dual_fmamk_f32 v37, v76, 0x3d64c772, v59
	v_dual_add_f32 v121, v54, v46 :: v_dual_add_f32 v42, v36, v47
	v_sub_f32_e32 v46, v46, v54
	v_sub_f32_e32 v54, v132, v130
	v_dual_fmamk_f32 v36, v75, 0x3d64c772, v55 :: v_dual_sub_f32 v75, v77, v65
	v_fma_f32 v60, 0x3f3bfb3b, v71, -v60
	v_fma_f32 v63, 0x3f3bfb3b, v72, -v63
	;; [unrolled: 1-line block ×4, first 2 shown]
	v_fmamk_f32 v71, v44, 0x3eae86e6, v69
	v_fmamk_f32 v72, v52, 0x3eae86e6, v70
	v_fma_f32 v69, 0x3f5ff5aa, v40, -v69
	v_fma_f32 v56, 0x3f5ff5aa, v56, -v70
	v_fma_f32 v70, 0xbeae86e6, v44, -v73
	v_fma_f32 v73, 0xbeae86e6, v52, -v74
	v_add_f32_e32 v40, v68, v77
	v_add_f32_e32 v44, v81, v80
	v_dual_sub_f32 v52, v68, v77 :: v_dual_add_f32 v125, v118, v64
	v_sub_f32_e32 v74, v81, v80
	v_sub_f32_e32 v76, v80, v83
	v_dual_sub_f32 v68, v65, v68 :: v_dual_sub_f32 v77, v83, v81
	v_dual_add_f32 v80, v57, v49 :: v_dual_sub_f32 v127, v118, v64
	v_add_f32_e32 v81, v61, v53
	v_dual_sub_f32 v123, v57, v49 :: v_dual_add_f32 v126, v119, v82
	v_dual_sub_f32 v124, v61, v53 :: v_dual_add_f32 v129, v46, v58
	v_dual_sub_f32 v49, v49, v45 :: v_dual_fmamk_f32 v50, v50, 0xbf955555, v43
	v_dual_sub_f32 v57, v45, v57 :: v_dual_sub_f32 v128, v119, v82
	v_sub_f32_e32 v61, v48, v61
	v_dual_sub_f32 v53, v53, v48 :: v_dual_sub_f32 v64, v64, v121
	v_sub_f32_e32 v131, v46, v58
	v_sub_f32_e32 v82, v82, v122
	v_dual_sub_f32 v118, v121, v118 :: v_dual_fmamk_f32 v47, v47, 0xbf955555, v42
	v_sub_f32_e32 v119, v122, v119
	v_dual_add_f32 v130, v54, v120 :: v_dual_fmac_f32 v71, 0x3ee1c552, v41
	v_dual_sub_f32 v132, v54, v120 :: v_dual_fmac_f32 v69, 0x3ee1c552, v41
	v_dual_sub_f32 v46, v62, v46 :: v_dual_fmac_f32 v73, 0x3ee1c552, v51
	v_dual_sub_f32 v54, v117, v54 :: v_dual_add_f32 v83, v83, v44
	v_dual_sub_f32 v58, v58, v62 :: v_dual_add_f32 v65, v65, v40
	;; [unrolled: 1-line block ×3, first 2 shown]
	v_dual_fmac_f32 v72, 0x3ee1c552, v51 :: v_dual_add_f32 v117, v130, v117
	v_fmac_f32_e32 v70, 0x3ee1c552, v41
	v_dual_add_f32 v80, v80, v45 :: v_dual_mul_f32 v41, 0x3f4a47b2, v76
	v_dual_mul_f32 v44, 0x3d64c772, v68 :: v_dual_mul_f32 v45, 0x3d64c772, v77
	v_dual_mul_f32 v48, 0xbf08b237, v123 :: v_dual_add_f32 v121, v121, v125
	v_dual_fmac_f32 v56, 0x3ee1c552, v51 :: v_dual_add_f32 v63, v63, v50
	v_dual_mul_f32 v40, 0x3f4a47b2, v75 :: v_dual_add_f32 v59, v59, v50
	v_mul_f32_e32 v51, 0xbf08b237, v124
	v_dual_mul_f32 v75, 0x3f5ff5aa, v49 :: v_dual_add_f32 v122, v122, v126
	v_mul_f32_e32 v76, 0x3f5ff5aa, v53
	v_dual_add_f32 v62, v129, v62 :: v_dual_mul_f32 v125, 0xbf08b237, v131
	v_dual_mul_f32 v64, 0x3f4a47b2, v64 :: v_dual_add_f32 v55, v55, v47
	v_mul_f32_e32 v82, 0x3f4a47b2, v82
	v_dual_mul_f32 v123, 0x3d64c772, v118 :: v_dual_mul_f32 v124, 0x3d64c772, v119
	v_mul_f32_e32 v126, 0xbf08b237, v132
	v_mul_f32_e32 v129, 0x3f5ff5aa, v58
	v_dual_add_f32 v131, v36, v47 :: v_dual_add_f32 v132, v37, v50
	v_add_f32_e32 v60, v60, v47
	v_dual_add_f32 v36, v66, v65 :: v_dual_add_f32 v37, v67, v83
	v_fmamk_f32 v67, v77, 0x3d64c772, v41
	v_fma_f32 v77, 0x3f3bfb3b, v74, -v45
	v_fma_f32 v161, 0x3f5ff5aa, v53, -v51
	v_add_f32_e32 v45, v39, v122
	v_dual_sub_f32 v53, v63, v69 :: v_dual_mul_f32 v130, 0x3f5ff5aa, v120
	v_sub_f32_e32 v47, v132, v71
	v_fmamk_f32 v66, v68, 0x3d64c772, v40
	v_fma_f32 v68, 0x3f3bfb3b, v52, -v44
	v_fma_f32 v133, 0xbf3bfb3b, v52, -v40
	;; [unrolled: 1-line block ×3, first 2 shown]
	v_fmamk_f32 v40, v57, 0x3eae86e6, v48
	v_fmamk_f32 v41, v61, 0x3eae86e6, v51
	v_fma_f32 v134, 0x3f5ff5aa, v49, -v48
	v_fma_f32 v75, 0xbeae86e6, v57, -v75
	;; [unrolled: 1-line block ×3, first 2 shown]
	v_dual_add_f32 v44, v38, v121 :: v_dual_add_f32 v51, v69, v63
	v_dual_fmamk_f32 v76, v118, 0x3d64c772, v64 :: v_dual_add_f32 v57, v71, v132
	v_fmamk_f32 v162, v54, 0x3eae86e6, v126
	v_fma_f32 v58, 0x3f5ff5aa, v58, -v125
	v_fma_f32 v163, 0xbeae86e6, v46, -v129
	v_fma_f32 v164, 0xbeae86e6, v54, -v130
	v_dual_add_f32 v48, v73, v55 :: v_dual_fmac_f32 v161, 0x3ee1c552, v81
	v_dual_sub_f32 v49, v59, v70 :: v_dual_sub_f32 v50, v60, v56
	v_dual_add_f32 v52, v56, v60 :: v_dual_fmac_f32 v61, 0x3ee1c552, v81
	v_dual_sub_f32 v54, v55, v73 :: v_dual_fmac_f32 v75, 0x3ee1c552, v80
	v_add_f32_e32 v55, v70, v59
	v_fmamk_f32 v59, v65, 0xbf955555, v36
	v_fmamk_f32 v118, v119, 0x3d64c772, v82
	v_fma_f32 v119, 0x3f3bfb3b, v127, -v123
	v_fma_f32 v123, 0x3f3bfb3b, v128, -v124
	v_fmamk_f32 v65, v122, 0xbf955555, v45
	v_fmamk_f32 v60, v83, 0xbf955555, v37
	v_fmamk_f32 v124, v46, 0x3eae86e6, v125
	v_fma_f32 v64, 0xbf3bfb3b, v127, -v64
	v_fma_f32 v82, 0xbf3bfb3b, v128, -v82
	v_dual_add_f32 v46, v72, v131 :: v_dual_fmac_f32 v41, 0x3ee1c552, v81
	v_dual_sub_f32 v56, v131, v72 :: v_dual_fmamk_f32 v63, v121, 0xbf955555, v44
	v_dual_fmac_f32 v40, 0x3ee1c552, v80 :: v_dual_fmac_f32 v163, 0x3ee1c552, v62
	v_fmac_f32_e32 v58, 0x3ee1c552, v62
	v_dual_add_f32 v38, v66, v59 :: v_dual_add_f32 v39, v67, v60
	v_fmac_f32_e32 v124, 0x3ee1c552, v62
	v_add_f32_e32 v62, v68, v59
	v_add_f32_e32 v59, v133, v59
	v_fma_f32 v120, 0x3f5ff5aa, v120, -v126
	v_fmac_f32_e32 v134, 0x3ee1c552, v80
	ds_store_2addr_b64 v255, v[42:43], v[46:47] offset1:68
	ds_store_2addr_b64 v255, v[48:49], v[50:51] offset0:136 offset1:204
	ds_store_2addr_b64 v78, v[52:53], v[54:55] offset0:16 offset1:84
	ds_store_b64 v255, v[56:57] offset:3264
	v_add_f32_e32 v53, v82, v65
	v_fmac_f32_e32 v164, 0x3ee1c552, v117
	v_dual_add_f32 v54, v76, v63 :: v_dual_add_f32 v55, v118, v65
	v_add_f32_e32 v51, v123, v65
	v_dual_fmac_f32 v162, 0x3ee1c552, v117 :: v_dual_add_f32 v127, v161, v62
	v_dual_add_f32 v52, v64, v63 :: v_dual_sub_f32 v125, v62, v161
	v_dual_sub_f32 v129, v59, v61 :: v_dual_add_f32 v66, v77, v60
	v_sub_f32_e32 v131, v38, v41
	v_add_f32_e32 v60, v74, v60
	v_add_f32_e32 v50, v119, v63
	v_dual_add_f32 v135, v61, v59 :: v_dual_fmac_f32 v120, 0x3ee1c552, v117
	v_dual_sub_f32 v43, v55, v124 :: v_dual_add_f32 v126, v134, v66
	v_dual_add_f32 v55, v124, v55 :: v_dual_sub_f32 v128, v66, v134
	v_dual_sub_f32 v47, v53, v163 :: v_dual_add_f32 v46, v164, v52
	v_add_f32_e32 v49, v58, v51
	v_dual_sub_f32 v51, v51, v58 :: v_dual_sub_f32 v136, v60, v75
	v_add_f32_e32 v130, v75, v60
	v_dual_add_f32 v53, v163, v53 :: v_dual_add_f32 v42, v162, v54
	v_add_f32_e32 v132, v40, v39
	v_sub_f32_e32 v48, v50, v120
	v_add_f32_e32 v50, v120, v50
	v_sub_f32_e32 v52, v52, v164
	v_sub_f32_e32 v54, v54, v162
	ds_store_2addr_b64 v254, v[44:45], v[42:43] offset1:68
	ds_store_2addr_b64 v254, v[46:47], v[48:49] offset0:136 offset1:204
	ds_store_2addr_b64 v79, v[50:51], v[52:53] offset0:16 offset1:84
	ds_store_b64 v254, v[54:55] offset:3264
	s_and_saveexec_b32 s1, s0
	s_cbranch_execz .LBB0_11
; %bb.10:
	v_dual_sub_f32 v39, v39, v40 :: v_dual_lshlrev_b32 v42, 3, v253
	v_add_f32_e32 v38, v41, v38
	s_delay_alu instid0(VALU_DEP_2)
	v_add_nc_u32_e32 v40, 0x2800, v42
	v_add_nc_u32_e32 v41, 0x3000, v42
	ds_store_2addr_b64 v40, v[36:37], v[38:39] offset0:148 offset1:216
	ds_store_2addr_b64 v41, v[135:136], v[125:126] offset0:28 offset1:96
	ds_store_2addr_b64 v41, v[127:128], v[129:130] offset0:164 offset1:232
	ds_store_b64 v42, v[131:132] offset:14688
.LBB0_11:
	s_wait_alu 0xfffe
	s_or_b32 exec_lo, exec_lo, s1
	v_mad_co_u64_u32 v[52:53], null, v250, 24, s[2:3]
	global_wb scope:SCOPE_SE
	s_wait_dscnt 0x0
	s_barrier_signal -1
	s_barrier_wait -1
	global_inv scope:SCOPE_SE
	s_clause 0x7
	global_load_b128 v[44:47], v[52:53], off offset:3672
	global_load_b64 v[119:120], v[52:53], off offset:3688
	global_load_b128 v[48:51], v[52:53], off offset:6528
	global_load_b64 v[121:122], v[52:53], off offset:6544
	;; [unrolled: 2-line block ×4, first 2 shown]
	v_add_nc_u32_e32 v133, 0xc00, v141
	v_add_nc_u32_e32 v134, 0x1c00, v141
	;; [unrolled: 1-line block ×3, first 2 shown]
	ds_load_2addr_b64 v[52:55], v133 offset0:92 offset1:211
	ds_load_2addr_b64 v[56:59], v134 offset0:56 offset1:175
	ds_load_2addr_b64 v[60:63], v161 offset0:20 offset1:139
	v_add_nc_u32_e32 v162, 0x1400, v141
	v_add_nc_u32_e32 v163, 0x2400, v141
	;; [unrolled: 1-line block ×4, first 2 shown]
	s_wait_loadcnt_dscnt 0x600
	v_dual_mul_f32 v166, v53, v45 :: v_dual_mul_f32 v171, v60, v120
	ds_load_2addr_b64 v[64:67], v162 offset0:74 offset1:193
	s_wait_loadcnt 0x4
	v_dual_mul_f32 v177, v62, v122 :: v_dual_mul_f32 v174, v59, v51
	v_dual_mul_f32 v175, v58, v51 :: v_dual_mul_f32 v176, v63, v122
	ds_load_2addr_b64 v[68:71], v163 offset0:38 offset1:157
	ds_load_2addr_b64 v[72:75], v164 offset0:130 offset1:249
	ds_load_2addr_b64 v[76:79], v141 offset1:119
	ds_load_2addr_b64 v[80:83], v165 offset0:110 offset1:229
	v_dual_mul_f32 v167, v52, v45 :: v_dual_mul_f32 v168, v57, v47
	v_dual_mul_f32 v169, v56, v47 :: v_dual_mul_f32 v170, v61, v120
	v_mul_f32_e32 v172, v55, v49
	v_mul_f32_e32 v173, v54, v49
	v_fma_f32 v52, v52, v44, -v166
	v_fmac_f32_e32 v177, v63, v121
	s_wait_loadcnt_dscnt 0x304
	v_mul_f32_e32 v178, v65, v41
	s_wait_loadcnt_dscnt 0x103
	v_dual_mul_f32 v179, v64, v41 :: v_dual_mul_f32 v186, v71, v39
	v_mul_f32_e32 v180, v69, v43
	v_mul_f32_e32 v181, v68, v43
	s_wait_dscnt 0x2
	v_dual_mul_f32 v183, v72, v124 :: v_dual_mul_f32 v184, v67, v37
	v_dual_mul_f32 v187, v70, v39 :: v_dual_mul_f32 v182, v73, v124
	v_fma_f32 v54, v54, v48, -v172
	s_delay_alu instid0(VALU_DEP_3)
	v_fmac_f32_e32 v183, v73, v123
	s_wait_loadcnt 0x0
	v_dual_mul_f32 v185, v66, v37 :: v_dual_mul_f32 v188, v75, v118
	v_fmac_f32_e32 v187, v71, v38
	v_fmac_f32_e32 v179, v65, v40
	v_fmac_f32_e32 v181, v69, v42
	v_fmac_f32_e32 v175, v59, v50
	v_fma_f32 v59, v68, v42, -v180
	v_fmac_f32_e32 v173, v55, v48
	v_fma_f32 v55, v58, v50, -v174
	v_fmac_f32_e32 v167, v53, v44
	v_fma_f32 v53, v56, v46, -v168
	v_fma_f32 v56, v60, v119, -v170
	v_fmac_f32_e32 v169, v57, v46
	v_fma_f32 v57, v62, v121, -v176
	v_fma_f32 v62, v70, v38, -v186
	;; [unrolled: 1-line block ×3, first 2 shown]
	v_dual_sub_f32 v56, v52, v56 :: v_dual_mul_f32 v189, v74, v118
	s_wait_dscnt 0x0
	s_delay_alu instid0(VALU_DEP_3)
	v_dual_sub_f32 v64, v77, v169 :: v_dual_sub_f32 v169, v82, v62
	v_fma_f32 v60, v72, v123, -v182
	v_sub_f32_e32 v72, v78, v55
	v_sub_f32_e32 v166, v80, v59
	v_fma_f32 v63, v74, v117, -v188
	v_fma_f32 v172, v82, 2.0, -v169
	v_sub_f32_e32 v55, v54, v57
	v_sub_f32_e32 v57, v173, v177
	v_fmac_f32_e32 v171, v61, v119
	v_fma_f32 v61, v66, v36, -v184
	v_fma_f32 v80, v80, 2.0, -v166
	v_fma_f32 v52, v52, 2.0, -v56
	s_delay_alu instid0(VALU_DEP_4) | instskip(NEXT) | instid1(VALU_DEP_4)
	v_dual_sub_f32 v70, v72, v57 :: v_dual_sub_f32 v65, v167, v171
	v_dual_sub_f32 v68, v61, v63 :: v_dual_add_f32 v63, v64, v56
	v_fma_f32 v56, v54, 2.0, -v55
	v_sub_f32_e32 v59, v58, v60
	s_delay_alu instid0(VALU_DEP_4) | instskip(SKIP_4) | instid1(VALU_DEP_3)
	v_fma_f32 v74, v167, 2.0, -v65
	v_fma_f32 v167, v78, 2.0, -v72
	v_sub_f32_e32 v53, v76, v53
	v_fmac_f32_e32 v185, v67, v36
	v_fma_f32 v77, v77, 2.0, -v64
	v_sub_f32_e32 v62, v53, v65
	v_fma_f32 v76, v76, 2.0, -v53
	v_fmac_f32_e32 v189, v75, v117
	v_fma_f32 v65, v173, 2.0, -v57
	v_fma_f32 v57, v58, 2.0, -v59
	s_delay_alu instid0(VALU_DEP_3) | instskip(NEXT) | instid1(VALU_DEP_1)
	v_sub_f32_e32 v69, v185, v189
	v_sub_f32_e32 v58, v169, v69
	;; [unrolled: 1-line block ×4, first 2 shown]
	v_dual_sub_f32 v168, v81, v181 :: v_dual_sub_f32 v73, v79, v175
	v_fma_f32 v174, v185, 2.0, -v69
	s_delay_alu instid0(VALU_DEP_4) | instskip(NEXT) | instid1(VALU_DEP_4)
	v_fma_f32 v173, v83, 2.0, -v170
	v_fma_f32 v78, v179, 2.0, -v60
	s_delay_alu instid0(VALU_DEP_4)
	v_fma_f32 v81, v81, 2.0, -v168
	v_fma_f32 v171, v79, 2.0, -v73
	;; [unrolled: 1-line block ×3, first 2 shown]
	v_sub_f32_e32 v66, v166, v60
	v_sub_f32_e32 v60, v76, v52
	v_add_f32_e32 v67, v168, v59
	v_add_f32_e32 v59, v170, v68
	v_dual_sub_f32 v61, v77, v74 :: v_dual_sub_f32 v68, v167, v56
	v_sub_f32_e32 v69, v171, v65
	v_dual_sub_f32 v65, v81, v78 :: v_dual_sub_f32 v56, v172, v79
	v_add_f32_e32 v71, v73, v55
	v_fma_f32 v55, v64, 2.0, -v63
	v_dual_sub_f32 v64, v80, v57 :: v_dual_sub_f32 v57, v173, v174
	v_fma_f32 v54, v53, 2.0, -v62
	v_fma_f32 v74, v72, 2.0, -v70
	;; [unrolled: 1-line block ×15, first 2 shown]
	ds_store_2addr_b64 v161, v[62:63], v[70:71] offset0:20 offset1:139
	ds_store_2addr_b64 v164, v[66:67], v[58:59] offset0:130 offset1:249
	;; [unrolled: 1-line block ×6, first 2 shown]
	ds_store_2addr_b64 v141, v[52:53], v[72:73] offset1:119
	ds_store_2addr_b64 v165, v[80:81], v[76:77] offset0:110 offset1:229
	global_wb scope:SCOPE_SE
	s_wait_dscnt 0x0
	s_barrier_signal -1
	s_barrier_wait -1
	global_inv scope:SCOPE_SE
	s_and_saveexec_b32 s1, vcc_lo
	s_cbranch_execz .LBB0_13
; %bb.12:
	global_load_b64 v[133:134], v138, s[8:9] offset:15232
	s_add_nc_u64 s[2:3], s[8:9], 0x3b80
	s_clause 0xf
	global_load_b64 v[193:194], v138, s[2:3] offset:896
	global_load_b64 v[195:196], v138, s[2:3] offset:1792
	;; [unrolled: 1-line block ×16, first 2 shown]
	ds_load_b64 v[161:162], v141
	v_add_nc_u32_e32 v226, 0x1000, v138
	v_add_nc_u32_e32 v228, 0x1c00, v138
	;; [unrolled: 1-line block ×4, first 2 shown]
	s_wait_loadcnt_dscnt 0x1000
	v_mul_f32_e32 v163, v162, v134
	v_mul_f32_e32 v164, v161, v134
	s_delay_alu instid0(VALU_DEP_2) | instskip(NEXT) | instid1(VALU_DEP_2)
	v_fma_f32 v163, v161, v133, -v163
	v_fmac_f32_e32 v164, v162, v133
	ds_store_b64 v141, v[163:164]
	ds_load_2addr_b64 v[161:164], v138 offset0:112 offset1:224
	ds_load_2addr_b64 v[165:168], v225 offset0:80 offset1:192
	v_add_nc_u32_e32 v227, 0x1800, v138
	v_add_nc_u32_e32 v229, 0x2400, v138
	ds_load_2addr_b64 v[169:172], v226 offset0:48 offset1:160
	v_add_nc_u32_e32 v231, 0x3400, v138
	s_wait_loadcnt_dscnt 0xf02
	v_mul_f32_e32 v133, v162, v194
	v_mul_f32_e32 v134, v161, v194
	s_wait_loadcnt 0xe
	v_mul_f32_e32 v194, v163, v196
	ds_load_2addr_b64 v[173:176], v227 offset0:16 offset1:128
	s_wait_loadcnt_dscnt 0xa01
	v_mul_f32_e32 v236, v172, v204
	v_dual_mul_f32 v232, v164, v196 :: v_dual_mul_f32 v233, v166, v198
	v_mul_f32_e32 v196, v165, v198
	v_mul_f32_e32 v234, v168, v200
	;; [unrolled: 1-line block ×3, first 2 shown]
	ds_load_2addr_b64 v[177:180], v228 offset0:112 offset1:224
	ds_load_2addr_b64 v[181:184], v229 offset0:80 offset1:192
	;; [unrolled: 1-line block ×4, first 2 shown]
	v_mul_f32_e32 v235, v170, v202
	v_mul_f32_e32 v200, v169, v202
	;; [unrolled: 1-line block ×3, first 2 shown]
	v_fma_f32 v133, v161, v193, -v133
	v_fmac_f32_e32 v134, v162, v193
	v_fma_f32 v193, v163, v195, -v232
	v_fmac_f32_e32 v194, v164, v195
	;; [unrolled: 2-line block ×4, first 2 shown]
	v_fmac_f32_e32 v200, v170, v201
	s_wait_loadcnt_dscnt 0x804
	v_dual_mul_f32 v238, v176, v208 :: v_dual_mul_f32 v237, v174, v206
	v_mul_f32_e32 v204, v173, v206
	s_wait_loadcnt_dscnt 0x703
	v_dual_mul_f32 v206, v175, v208 :: v_dual_mul_f32 v239, v178, v210
	s_wait_loadcnt 0x6
	v_mul_f32_e32 v240, v180, v212
	v_mul_f32_e32 v208, v177, v210
	s_wait_loadcnt_dscnt 0x502
	v_dual_mul_f32 v210, v179, v212 :: v_dual_mul_f32 v241, v182, v214
	v_mul_f32_e32 v212, v181, v214
	s_wait_loadcnt_dscnt 0x301
	v_dual_mul_f32 v242, v184, v216 :: v_dual_mul_f32 v243, v186, v218
	s_wait_loadcnt_dscnt 0x100
	v_dual_mul_f32 v214, v183, v216 :: v_dual_mul_f32 v245, v190, v222
	v_mul_f32_e32 v216, v185, v218
	v_mul_f32_e32 v244, v188, v220
	;; [unrolled: 1-line block ×4, first 2 shown]
	s_wait_loadcnt 0x0
	v_mul_f32_e32 v246, v192, v224
	v_mul_f32_e32 v222, v191, v224
	v_fma_f32 v199, v169, v201, -v235
	v_fma_f32 v201, v171, v203, -v236
	v_fmac_f32_e32 v202, v172, v203
	v_fma_f32 v203, v173, v205, -v237
	v_fmac_f32_e32 v204, v174, v205
	;; [unrolled: 2-line block ×11, first 2 shown]
	ds_store_2addr_b64 v138, v[133:134], v[193:194] offset0:112 offset1:224
	ds_store_2addr_b64 v225, v[195:196], v[197:198] offset0:80 offset1:192
	;; [unrolled: 1-line block ×8, first 2 shown]
.LBB0_13:
	s_wait_alu 0xfffe
	s_or_b32 exec_lo, exec_lo, s1
	global_wb scope:SCOPE_SE
	s_wait_dscnt 0x0
	s_barrier_signal -1
	s_barrier_wait -1
	global_inv scope:SCOPE_SE
	s_and_saveexec_b32 s1, vcc_lo
	s_cbranch_execz .LBB0_15
; %bb.14:
	v_add_nc_u32_e32 v56, 0x400, v141
	v_add_nc_u32_e32 v57, 0xc00, v141
	v_add_nc_u32_e32 v58, 0x1400, v141
	ds_load_2addr_b64 v[52:55], v141 offset1:112
	v_add_nc_u32_e32 v59, 0x2800, v141
	ds_load_2addr_b64 v[60:63], v56 offset0:96 offset1:208
	ds_load_2addr_b64 v[72:75], v57 offset0:64 offset1:176
	v_add_nc_u32_e32 v56, 0x1800, v141
	v_add_nc_u32_e32 v57, 0x2000, v141
	;; [unrolled: 1-line block ×3, first 2 shown]
	ds_load_2addr_b64 v[68:71], v58 offset0:32 offset1:144
	ds_load_2addr_b64 v[80:83], v56 offset0:128 offset1:240
	;; [unrolled: 1-line block ×5, first 2 shown]
	ds_load_b64 v[135:136], v141 offset:14336
.LBB0_15:
	s_wait_alu 0xfffe
	s_or_b32 exec_lo, exec_lo, s1
	s_wait_dscnt 0x0
	v_dual_sub_f32 v205, v55, v136 :: v_dual_add_f32 v206, v136, v55
	v_add_f32_e32 v203, v135, v54
	v_sub_f32_e32 v207, v54, v135
	v_dual_add_f32 v161, v58, v60 :: v_dual_sub_f32 v196, v61, v59
	s_delay_alu instid0(VALU_DEP_4) | instskip(SKIP_2) | instid1(VALU_DEP_4)
	v_mul_f32_e32 v204, 0xbeb8f4ab, v205
	v_mul_f32_e32 v180, 0x3f6eb680, v206
	v_dual_add_f32 v162, v59, v61 :: v_dual_sub_f32 v179, v60, v58
	v_dual_mul_f32 v84, 0xbf2c7751, v196 :: v_dual_sub_f32 v197, v63, v57
	s_delay_alu instid0(VALU_DEP_4) | instskip(NEXT) | instid1(VALU_DEP_4)
	v_fma_f32 v133, 0x3f6eb680, v203, -v204
	v_fmamk_f32 v134, v207, 0xbeb8f4ab, v180
	s_delay_alu instid0(VALU_DEP_4) | instskip(NEXT) | instid1(VALU_DEP_4)
	v_dual_mul_f32 v137, 0x3f3d2fb0, v162 :: v_dual_add_f32 v164, v57, v63
	v_fma_f32 v165, 0x3f3d2fb0, v161, -v84
	s_delay_alu instid0(VALU_DEP_3) | instskip(SKIP_1) | instid1(VALU_DEP_4)
	v_dual_add_f32 v133, v52, v133 :: v_dual_add_f32 v134, v53, v134
	v_mul_f32_e32 v139, 0xbf65296c, v197
	v_dual_fmamk_f32 v166, v179, 0xbf2c7751, v137 :: v_dual_add_f32 v163, v56, v62
	v_sub_f32_e32 v198, v73, v79
	s_delay_alu instid0(VALU_DEP_4) | instskip(NEXT) | instid1(VALU_DEP_3)
	v_dual_add_f32 v133, v165, v133 :: v_dual_sub_f32 v226, v62, v56
	v_dual_add_f32 v134, v166, v134 :: v_dual_sub_f32 v199, v75, v77
	s_delay_alu instid0(VALU_DEP_4)
	v_fma_f32 v167, 0x3ee437d1, v163, -v139
	v_mul_f32_e32 v140, 0x3ee437d1, v164
	v_dual_add_f32 v166, v79, v73 :: v_dual_add_f32 v165, v78, v72
	v_mul_f32_e32 v212, 0xbf7ee86f, v198
	v_dual_sub_f32 v182, v72, v78 :: v_dual_mul_f32 v211, 0xbf763a35, v199
	v_add_f32_e32 v133, v167, v133
	v_add_f32_e32 v167, v76, v74
	v_mul_f32_e32 v213, 0x3dbcf732, v166
	v_fma_f32 v169, 0x3dbcf732, v165, -v212
	v_fmamk_f32 v168, v226, 0xbf65296c, v140
	v_dual_sub_f32 v200, v69, v67 :: v_dual_sub_f32 v201, v71, v65
	v_fma_f32 v171, 0xbe8c1d8e, v167, -v211
	s_delay_alu instid0(VALU_DEP_3) | instskip(SKIP_3) | instid1(VALU_DEP_4)
	v_dual_add_f32 v133, v169, v133 :: v_dual_add_f32 v134, v168, v134
	v_add_f32_e32 v168, v77, v75
	v_fmamk_f32 v170, v182, 0xbf7ee86f, v213
	v_add_f32_e32 v169, v66, v68
	v_add_f32_e32 v133, v171, v133
	v_mul_f32_e32 v145, 0xbf4c4adb, v200
	s_delay_alu instid0(VALU_DEP_4) | instskip(SKIP_3) | instid1(VALU_DEP_3)
	v_dual_mul_f32 v219, 0xbe8c1d8e, v168 :: v_dual_add_f32 v134, v170, v134
	v_dual_add_f32 v170, v67, v69 :: v_dual_add_f32 v171, v64, v70
	v_sub_f32_e32 v186, v74, v76
	v_dual_sub_f32 v188, v68, v66 :: v_dual_mul_f32 v217, 0xbf06c442, v201
	v_mul_f32_e32 v175, 0xbf1a4643, v170
	v_fma_f32 v173, 0xbf1a4643, v169, -v145
	s_delay_alu instid0(VALU_DEP_4) | instskip(SKIP_1) | instid1(VALU_DEP_3)
	v_fmamk_f32 v172, v186, 0xbf763a35, v219
	v_dual_sub_f32 v202, v81, v83 :: v_dual_sub_f32 v191, v70, v64
	v_dual_fmamk_f32 v174, v188, 0xbf4c4adb, v175 :: v_dual_add_f32 v133, v173, v133
	s_delay_alu instid0(VALU_DEP_3)
	v_dual_add_f32 v173, v82, v80 :: v_dual_add_f32 v134, v172, v134
	v_add_f32_e32 v172, v65, v71
	v_fma_f32 v209, 0xbf59a7d5, v171, -v217
	v_mul_f32_e32 v216, 0xbe3c28d5, v202
	global_wb scope:SCOPE_SE
	v_dual_add_f32 v134, v174, v134 :: v_dual_mul_f32 v215, 0xbf59a7d5, v172
	v_add_f32_e32 v174, v83, v81
	v_add_f32_e32 v133, v209, v133
	v_fma_f32 v209, 0xbf7ba420, v173, -v216
	v_sub_f32_e32 v194, v80, v82
	v_fmamk_f32 v210, v191, 0xbf06c442, v215
	v_mul_f32_e32 v208, 0xbf7ba420, v174
	s_barrier_signal -1
	v_add_f32_e32 v133, v209, v133
	s_barrier_wait -1
	v_add_f32_e32 v134, v210, v134
	v_fmamk_f32 v210, v194, 0xbe3c28d5, v208
	global_inv scope:SCOPE_SE
	v_add_f32_e32 v134, v210, v134
	s_and_saveexec_b32 s1, vcc_lo
	s_cbranch_execz .LBB0_17
; %bb.16:
	v_dual_add_f32 v55, v55, v53 :: v_dual_add_f32 v54, v54, v52
	v_mul_f32_e32 v222, 0xbe3c28d5, v198
	v_dual_mul_f32 v224, 0x3f763a35, v200 :: v_dual_mul_f32 v235, 0x3f763a35, v198
	s_delay_alu instid0(VALU_DEP_3) | instskip(SKIP_2) | instid1(VALU_DEP_3)
	v_dual_add_f32 v55, v61, v55 :: v_dual_add_f32 v54, v60, v54
	v_dual_mul_f32 v228, 0xbf4c4adb, v179 :: v_dual_mul_f32 v233, 0xbf4c4adb, v196
	v_mul_f32_e32 v229, 0x3e3c28d5, v226
	v_dual_add_f32 v55, v63, v55 :: v_dual_add_f32 v54, v62, v54
	v_mul_f32_e32 v230, 0x3f763a35, v182
	v_mul_f32_e32 v242, 0x3f763a35, v226
	s_delay_alu instid0(VALU_DEP_3) | instskip(NEXT) | instid1(VALU_DEP_4)
	v_dual_mul_f32 v232, 0xbeb8f4ab, v188 :: v_dual_add_f32 v55, v73, v55
	v_add_f32_e32 v54, v72, v54
	s_clause 0x1
	scratch_store_b32 off, v247, off offset:4
	scratch_store_b32 off, v251, off offset:8
	v_mul_f32_e32 v247, 0x3f763a35, v197
	v_dual_add_f32 v55, v75, v55 :: v_dual_add_f32 v54, v74, v54
	v_mul_f32_e32 v74, 0xbf7ee86f, v205
	v_mul_f32_e32 v234, 0x3e3c28d5, v197
	s_clause 0x2
	scratch_store_b64 off, v[125:126], off offset:16
	scratch_store_b32 off, v252, off offset:24
	scratch_store_b32 off, v253, off offset:28
	v_dual_add_f32 v55, v69, v55 :: v_dual_add_f32 v54, v68, v54
	v_dual_mov_b32 v125, v249 :: v_dual_mul_f32 v236, 0x3f2c7751, v199
	v_mul_f32_e32 v237, 0xbeb8f4ab, v200
	s_delay_alu instid0(VALU_DEP_3) | instskip(SKIP_2) | instid1(VALU_DEP_3)
	v_dual_add_f32 v55, v71, v55 :: v_dual_add_f32 v54, v70, v54
	v_mul_f32_e32 v238, 0xbf7ee86f, v201
	v_dual_mul_f32 v240, 0xbf06c442, v202 :: v_dual_mul_f32 v245, 0xbf06c442, v188
	v_dual_add_f32 v55, v81, v55 :: v_dual_add_f32 v54, v80, v54
	v_mul_f32_e32 v241, 0xbe3c28d5, v179
	v_mul_f32_e32 v243, 0x3eb8f4ab, v182
	v_dual_mul_f32 v244, 0xbf65296c, v186 :: v_dual_mul_f32 v249, 0xbf65296c, v199
	s_delay_alu instid0(VALU_DEP_4)
	v_dual_add_f32 v55, v83, v55 :: v_dual_add_f32 v54, v82, v54
	v_fma_f32 v82, 0x3dbcf732, v203, -v74
	v_mul_f32_e32 v246, 0xbe3c28d5, v196
	scratch_store_b32 off, v250, off offset:12 ; 4-byte Folded Spill
	v_dual_add_f32 v55, v65, v55 :: v_dual_add_f32 v54, v64, v54
	scratch_store_b32 off, v248, off        ; 4-byte Folded Spill
	v_mul_f32_e32 v250, 0xbf06c442, v200
	s_clause 0x2
	scratch_store_b64 off, v[129:130], off offset:32
	scratch_store_b64 off, v[127:128], off offset:60
	scratch_store_b32 off, v151, off offset:68
	v_dual_add_f32 v55, v67, v55 :: v_dual_add_f32 v54, v66, v54
	v_dual_mov_b32 v129, v158 :: v_dual_mul_f32 v252, 0x3f2c7751, v194
	s_delay_alu instid0(VALU_DEP_2) | instskip(NEXT) | instid1(VALU_DEP_3)
	v_dual_mul_f32 v158, 0x3f2c7751, v197 :: v_dual_add_f32 v55, v77, v55
	v_add_f32_e32 v54, v76, v54
	v_dual_mul_f32 v142, 0xbf65296c, v198 :: v_dual_mov_b32 v127, v147
	v_mul_f32_e32 v143, 0xbe3c28d5, v199
	s_delay_alu instid0(VALU_DEP_3)
	v_dual_add_f32 v55, v79, v55 :: v_dual_add_f32 v54, v78, v54
	v_mul_f32_e32 v144, 0x3f7ee86f, v200
	v_mul_f32_e32 v147, 0xbf4c4adb, v202
	scratch_store_b32 off, v148, off offset:76 ; 4-byte Folded Spill
	v_dual_add_f32 v55, v57, v55 :: v_dual_add_f32 v54, v56, v54
	v_mul_f32_e32 v75, 0xbf06c442, v205
	v_mul_f32_e32 v148, 0x3f763a35, v179
	v_dual_mul_f32 v151, 0xbf2c7751, v188 :: v_dual_mov_b32 v176, v84
	s_delay_alu instid0(VALU_DEP_4) | instskip(SKIP_4) | instid1(VALU_DEP_4)
	v_dual_add_f32 v55, v59, v55 :: v_dual_add_f32 v54, v58, v54
	v_mul_f32_e32 v58, 0xbf06c442, v207
	v_dual_mul_f32 v77, 0xbf4c4adb, v205 :: v_dual_add_f32 v82, v52, v82
	v_fma_f32 v79, 0xbf59a7d5, v203, -v75
	v_mul_f32_e32 v76, 0xbf763a35, v205
	v_fmamk_f32 v59, v206, 0xbf59a7d5, v58
	v_fma_f32 v60, 0xbf59a7d5, v206, -v58
	v_mul_f32_e32 v58, 0xbf4c4adb, v207
	v_fma_f32 v80, 0xbf1a4643, v203, -v77
	v_add_f32_e32 v79, v52, v79
	v_fma_f32 v81, 0xbe8c1d8e, v203, -v76
	v_fmac_f32_e32 v75, 0xbf59a7d5, v203
	s_delay_alu instid0(VALU_DEP_4)
	v_dual_fmamk_f32 v61, v206, 0xbf1a4643, v58 :: v_dual_add_f32 v80, v52, v80
	v_fma_f32 v62, 0xbf1a4643, v206, -v58
	v_mul_f32_e32 v58, 0xbf763a35, v207
	v_mul_f32_e32 v73, 0xbf65296c, v205
	v_fmac_f32_e32 v77, 0xbf1a4643, v203
	v_mul_f32_e32 v146, 0xbf4c4adb, v194
	v_mul_f32_e32 v218, 0x3f65296c, v194
	v_fmamk_f32 v63, v206, 0xbe8c1d8e, v58
	v_fma_f32 v64, 0xbe8c1d8e, v206, -v58
	v_dual_mul_f32 v58, 0xbf7ee86f, v207 :: v_dual_add_f32 v81, v52, v81
	v_fma_f32 v83, 0x3ee437d1, v203, -v73
	v_fmac_f32_e32 v73, 0x3ee437d1, v203
	v_mul_f32_e32 v248, 0x3eb8f4ab, v198
	s_delay_alu instid0(VALU_DEP_4)
	v_fmamk_f32 v65, v206, 0x3dbcf732, v58
	v_fma_f32 v66, 0x3dbcf732, v206, -v58
	v_mul_f32_e32 v58, 0xbf65296c, v207
	v_dual_add_f32 v83, v52, v83 :: v_dual_mul_f32 v220, 0xbf7ee86f, v196
	v_mul_f32_e32 v177, 0x3f65296c, v202
	v_mul_f32_e32 v183, 0x3f4c4adb, v198
	s_delay_alu instid0(VALU_DEP_4)
	v_fmamk_f32 v67, v206, 0x3ee437d1, v58
	v_fma_f32 v68, 0x3ee437d1, v206, -v58
	v_mul_f32_e32 v58, 0xbf2c7751, v207
	v_mul_f32_e32 v72, 0xbf2c7751, v205
	;; [unrolled: 1-line block ×3, first 2 shown]
	v_dual_mul_f32 v185, 0xbe3c28d5, v200 :: v_dual_mov_b32 v130, v159
	s_delay_alu instid0(VALU_DEP_4)
	v_fmamk_f32 v69, v206, 0x3f3d2fb0, v58
	v_fma_f32 v70, 0x3f3d2fb0, v206, -v58
	v_mul_f32_e32 v58, 0xbeb8f4ab, v207
	v_mul_f32_e32 v56, 0xbe3c28d5, v207
	;; [unrolled: 1-line block ×5, first 2 shown]
	v_dual_sub_f32 v71, v180, v58 :: v_dual_mul_f32 v58, 0xbe3c28d5, v205
	v_fma_f32 v205, 0x3f3d2fb0, v203, -v72
	v_fmamk_f32 v57, v206, 0xbf7ba420, v56
	v_fma_f32 v56, 0xbf7ba420, v206, -v56
	v_fmac_f32_e32 v76, 0xbe8c1d8e, v203
	v_fma_f32 v78, 0xbf7ba420, v203, -v58
	v_fmac_f32_e32 v58, 0xbf7ba420, v203
	v_add_f32_e32 v206, v53, v59
	v_add_f32_e32 v63, v53, v63
	v_fmac_f32_e32 v74, 0x3dbcf732, v203
	v_add_f32_e32 v56, v53, v56
	v_add_f32_e32 v67, v53, v67
	v_fmac_f32_e32 v72, 0x3f3d2fb0, v203
	v_dual_mul_f32 v203, 0x3f6eb680, v203 :: v_dual_add_f32 v78, v52, v78
	scratch_store_b32 off, v56, off offset:96 ; 4-byte Folded Spill
	v_add_f32_e32 v65, v53, v65
	v_mul_f32_e32 v59, 0x3eb8f4ab, v194
	v_dual_add_f32 v203, v203, v204 :: v_dual_add_f32 v204, v52, v205
	v_dual_add_f32 v205, v53, v61 :: v_dual_add_f32 v56, v52, v58
	v_add_f32_e32 v69, v53, v69
	v_dual_add_f32 v207, v53, v57 :: v_dual_add_f32 v76, v52, v76
	v_fmamk_f32 v61, v164, 0xbe8c1d8e, v242
	scratch_store_b32 off, v56, off offset:92 ; 4-byte Folded Spill
	v_dual_add_f32 v56, v53, v60 :: v_dual_add_f32 v75, v52, v75
	v_mul_f32_e32 v221, 0xbf4c4adb, v197
	v_mul_f32_e32 v178, 0xbe3c28d5, v188
	;; [unrolled: 1-line block ×3, first 2 shown]
	scratch_store_b32 off, v56, off offset:144 ; 4-byte Folded Spill
	v_dual_add_f32 v56, v53, v62 :: v_dual_mul_f32 v181, 0xbf7ee86f, v197
	v_mul_f32_e32 v192, 0x3eb8f4ab, v179
	v_mul_f32_e32 v193, 0x3f2c7751, v182
	;; [unrolled: 1-line block ×3, first 2 shown]
	scratch_store_b32 off, v56, off offset:104 ; 4-byte Folded Spill
	v_dual_add_f32 v56, v52, v77 :: v_dual_add_f32 v77, v53, v64
	scratch_store_b32 off, v150, off offset:80 ; 4-byte Folded Spill
	v_mul_f32_e32 v150, 0x3f7ee86f, v186
	v_mul_f32_e32 v159, 0x3f65296c, v188
	scratch_store_b32 off, v56, off offset:100 ; 4-byte Folded Spill
	v_dual_add_f32 v56, v53, v66 :: v_dual_mul_f32 v223, 0x3f06c442, v199
	v_mul_f32_e32 v225, 0x3f65296c, v201
	v_mul_f32_e32 v84, 0xbe3c28d5, v201
	;; [unrolled: 1-line block ×3, first 2 shown]
	scratch_store_b32 off, v56, off offset:112 ; 4-byte Folded Spill
	v_add_f32_e32 v56, v52, v74
	v_dual_add_f32 v74, v53, v68 :: v_dual_fmamk_f32 v57, v164, 0xbf7ba420, v229
	v_dual_mul_f32 v231, 0x3f2c7751, v186 :: v_dual_mov_b32 v58, v145
	scratch_store_b32 off, v56, off offset:108 ; 4-byte Folded Spill
	v_dual_add_f32 v56, v52, v73 :: v_dual_mul_f32 v73, 0x3f2c7751, v226
	v_mul_f32_e32 v251, 0x3f4c4adb, v201
	v_dual_mul_f32 v253, 0x3f2c7751, v202 :: v_dual_mov_b32 v126, v149
	scratch_store_b32 off, v56, off offset:140 ; 4-byte Folded Spill
	v_add_f32_e32 v56, v53, v70
	v_add_f32_e32 v53, v53, v71
	v_mul_f32_e32 v149, 0xbf06c442, v182
	v_mul_f32_e32 v71, 0xbf7ee86f, v226
	;; [unrolled: 1-line block ×3, first 2 shown]
	s_clause 0x1
	scratch_store_b32 off, v56, off offset:120
	scratch_store_b32 off, v53, off offset:136
	v_add_f32_e32 v56, v52, v72
	v_dual_add_f32 v52, v52, v203 :: v_dual_mul_f32 v203, 0x3f06c442, v186
	v_dual_add_f32 v53, v136, v55 :: v_dual_mul_f32 v136, 0xbf4c4adb, v226
	v_mul_f32_e32 v72, 0x3f06c442, v179
	scratch_store_b32 off, v52, off offset:132 ; 4-byte Folded Spill
	v_add_f32_e32 v52, v135, v54
	scratch_store_b32 off, v56, off offset:116 ; 4-byte Folded Spill
	v_fmamk_f32 v55, v164, 0xbf1a4643, v136
	v_dual_mul_f32 v135, 0xbe3c28d5, v182 :: v_dual_mov_b32 v128, v152
	scratch_store_b64 off, v[52:53], off offset:84 ; 8-byte Folded Spill
	v_dual_mul_f32 v52, 0xbf7ee86f, v179 :: v_dual_mov_b32 v53, v255
	v_mul_f32_e32 v255, 0xbe3c28d5, v186
	v_mul_f32_e32 v152, 0x3f763a35, v196
	s_delay_alu instid0(VALU_DEP_3) | instskip(SKIP_3) | instid1(VALU_DEP_1)
	v_fmamk_f32 v54, v162, 0x3dbcf732, v52
	scratch_store_b32 off, v52, off offset:124 ; 4-byte Folded Spill
	v_mul_f32_e32 v52, 0x3f763a35, v188
	v_add_f32_e32 v54, v54, v69
	v_dual_add_f32 v54, v55, v54 :: v_dual_fmamk_f32 v55, v166, 0xbf7ba420, v135
	s_delay_alu instid0(VALU_DEP_1) | instskip(NEXT) | instid1(VALU_DEP_1)
	v_dual_add_f32 v54, v55, v54 :: v_dual_fmamk_f32 v55, v168, 0xbf59a7d5, v203
	v_dual_add_f32 v54, v55, v54 :: v_dual_fmamk_f32 v55, v170, 0xbe8c1d8e, v52
	s_delay_alu instid0(VALU_DEP_1) | instskip(SKIP_1) | instid1(VALU_DEP_1)
	v_add_f32_e32 v54, v55, v54
	v_fma_f32 v55, 0x3dbcf732, v161, -v220
	v_dual_add_f32 v55, v55, v204 :: v_dual_mul_f32 v204, 0x3f65296c, v191
	s_delay_alu instid0(VALU_DEP_1) | instskip(NEXT) | instid1(VALU_DEP_1)
	v_fmamk_f32 v56, v172, 0x3ee437d1, v204
	v_add_f32_e32 v54, v56, v54
	v_fma_f32 v56, 0xbf1a4643, v163, -v221
	s_delay_alu instid0(VALU_DEP_1) | instskip(SKIP_1) | instid1(VALU_DEP_1)
	v_add_f32_e32 v55, v56, v55
	v_fma_f32 v56, 0xbf7ba420, v165, -v222
	v_add_f32_e32 v55, v56, v55
	v_fma_f32 v56, 0xbf59a7d5, v167, -v223
	s_delay_alu instid0(VALU_DEP_1) | instskip(SKIP_1) | instid1(VALU_DEP_1)
	v_add_f32_e32 v55, v56, v55
	v_fma_f32 v56, 0xbe8c1d8e, v169, -v224
	v_dual_fmac_f32 v224, 0xbe8c1d8e, v169 :: v_dual_add_f32 v55, v56, v55
	v_fma_f32 v56, 0x3ee437d1, v171, -v225
	scratch_store_b32 off, v52, off offset:128 ; 4-byte Folded Spill
	v_mov_b32_e32 v52, v254
	v_mul_f32_e32 v254, 0xbf65296c, v182
	s_clause 0x1
	scratch_store_b64 off, v[131:132], off offset:40
	scratch_store_b32 off, v153, off offset:52
	v_dual_add_f32 v56, v56, v55 :: v_dual_fmamk_f32 v55, v174, 0x3f6eb680, v59
	v_dual_mul_f32 v153, 0xbe3c28d5, v191 :: v_dual_mov_b32 v132, v154
	v_mul_f32_e32 v154, 0xbeb8f4ab, v197
	s_clause 0x2
	scratch_store_b32 off, v155, off offset:72
	scratch_store_b32 off, v156, off offset:56
	;; [unrolled: 1-line block ×3, first 2 shown]
	v_add_f32_e32 v210, v55, v54
	v_fma_f32 v54, 0x3f6eb680, v173, -v227
	v_mov_b32_e32 v55, v139
	v_mul_f32_e32 v139, 0x3f06c442, v196
	v_fmamk_f32 v66, v172, 0xbf7ba420, v153
	v_mul_f32_e32 v155, 0xbf06c442, v198
	v_add_f32_e32 v209, v54, v56
	v_fmamk_f32 v56, v162, 0xbf1a4643, v228
	v_dual_mov_b32 v54, v137 :: v_dual_mul_f32 v137, 0x3f7ee86f, v188
	v_mul_f32_e32 v156, 0x3f7ee86f, v199
	s_delay_alu instid0(VALU_DEP_3) | instskip(SKIP_2) | instid1(VALU_DEP_3)
	v_dual_mul_f32 v157, 0xbf2c7751, v200 :: v_dual_add_f32 v56, v56, v67
	v_fmamk_f32 v67, v164, 0x3dbcf732, v71
	v_dual_mov_b32 v131, v160 :: v_dual_mul_f32 v160, 0xbf763a35, v191
	v_dual_mul_f32 v197, 0xbf06c442, v197 :: v_dual_add_f32 v56, v57, v56
	v_fmamk_f32 v57, v166, 0xbe8c1d8e, v230
	v_mul_f32_e32 v198, 0x3f2c7751, v198
	v_mul_f32_e32 v199, 0xbf4c4adb, v199
	v_fmac_f32_e32 v227, 0x3f6eb680, v173
	s_delay_alu instid0(VALU_DEP_4) | instskip(SKIP_1) | instid1(VALU_DEP_1)
	v_dual_fmac_f32 v223, 0xbf59a7d5, v167 :: v_dual_add_f32 v56, v57, v56
	v_fmamk_f32 v57, v168, 0x3f3d2fb0, v231
	v_dual_add_f32 v56, v57, v56 :: v_dual_fmamk_f32 v57, v170, 0x3f6eb680, v232
	s_delay_alu instid0(VALU_DEP_1) | instskip(SKIP_2) | instid1(VALU_DEP_2)
	v_add_f32_e32 v56, v57, v56
	v_fma_f32 v57, 0xbf1a4643, v161, -v233
	v_fmac_f32_e32 v233, 0xbf1a4643, v161
	v_add_f32_e32 v57, v57, v83
	v_mul_f32_e32 v83, 0xbf7ee86f, v191
	v_fmac_f32_e32 v220, 0x3dbcf732, v161
	s_delay_alu instid0(VALU_DEP_2) | instskip(NEXT) | instid1(VALU_DEP_1)
	v_fmamk_f32 v60, v172, 0x3dbcf732, v83
	v_add_f32_e32 v56, v60, v56
	v_fma_f32 v60, 0xbf7ba420, v163, -v234
	s_delay_alu instid0(VALU_DEP_1) | instskip(SKIP_1) | instid1(VALU_DEP_1)
	v_dual_fmac_f32 v234, 0xbf7ba420, v163 :: v_dual_add_f32 v57, v60, v57
	v_fma_f32 v60, 0xbe8c1d8e, v165, -v235
	v_add_f32_e32 v57, v60, v57
	v_fma_f32 v60, 0x3f3d2fb0, v167, -v236
	v_fmac_f32_e32 v222, 0xbf7ba420, v165
	s_delay_alu instid0(VALU_DEP_2) | instskip(SKIP_1) | instid1(VALU_DEP_1)
	v_add_f32_e32 v57, v60, v57
	v_fma_f32 v60, 0x3f6eb680, v169, -v237
	v_add_f32_e32 v57, v60, v57
	v_fma_f32 v60, 0x3dbcf732, v171, -v238
	s_delay_alu instid0(VALU_DEP_1) | instskip(NEXT) | instid1(VALU_DEP_1)
	v_dual_add_f32 v60, v60, v57 :: v_dual_mul_f32 v239, 0xbf06c442, v194
	v_fmamk_f32 v57, v174, 0xbf59a7d5, v239
	s_delay_alu instid0(VALU_DEP_1) | instskip(SKIP_2) | instid1(VALU_DEP_2)
	v_add_f32_e32 v57, v57, v56
	v_fma_f32 v56, 0xbf59a7d5, v173, -v240
	v_fmac_f32_e32 v240, 0xbf59a7d5, v173
	v_add_f32_e32 v56, v56, v60
	v_fmamk_f32 v60, v162, 0xbf7ba420, v241
	s_delay_alu instid0(VALU_DEP_1) | instskip(NEXT) | instid1(VALU_DEP_1)
	v_add_f32_e32 v60, v60, v65
	v_dual_add_f32 v60, v61, v60 :: v_dual_fmamk_f32 v61, v166, 0x3f6eb680, v243
	s_delay_alu instid0(VALU_DEP_1) | instskip(NEXT) | instid1(VALU_DEP_1)
	v_dual_add_f32 v60, v61, v60 :: v_dual_fmamk_f32 v61, v168, 0x3ee437d1, v244
	v_dual_add_f32 v60, v61, v60 :: v_dual_fmamk_f32 v61, v170, 0xbf59a7d5, v245
	s_delay_alu instid0(VALU_DEP_1) | instskip(SKIP_1) | instid1(VALU_DEP_1)
	v_add_f32_e32 v60, v61, v60
	v_fma_f32 v61, 0xbf7ba420, v161, -v246
	v_dual_add_f32 v61, v61, v82 :: v_dual_mul_f32 v82, 0x3f4c4adb, v191
	s_delay_alu instid0(VALU_DEP_1) | instskip(SKIP_1) | instid1(VALU_DEP_2)
	v_fmamk_f32 v62, v172, 0xbf1a4643, v82
	v_fma_f32 v82, 0xbf1a4643, v172, -v82
	v_add_f32_e32 v60, v62, v60
	v_fma_f32 v62, 0xbe8c1d8e, v163, -v247
	v_fmac_f32_e32 v247, 0xbe8c1d8e, v163
	s_delay_alu instid0(VALU_DEP_2) | instskip(SKIP_1) | instid1(VALU_DEP_1)
	v_add_f32_e32 v61, v62, v61
	v_fma_f32 v62, 0x3f6eb680, v165, -v248
	v_add_f32_e32 v61, v62, v61
	v_fma_f32 v62, 0x3ee437d1, v167, -v249
	s_delay_alu instid0(VALU_DEP_1) | instskip(SKIP_1) | instid1(VALU_DEP_1)
	v_add_f32_e32 v61, v62, v61
	v_fma_f32 v62, 0xbf59a7d5, v169, -v250
	v_add_f32_e32 v61, v62, v61
	v_fma_f32 v62, 0xbf1a4643, v171, -v251
	v_fmac_f32_e32 v246, 0xbf7ba420, v161
	s_delay_alu instid0(VALU_DEP_2) | instskip(SKIP_1) | instid1(VALU_DEP_1)
	v_add_f32_e32 v62, v62, v61
	v_fmamk_f32 v61, v174, 0x3f3d2fb0, v252
	v_add_f32_e32 v61, v61, v60
	v_fma_f32 v60, 0x3f3d2fb0, v173, -v253
	s_delay_alu instid0(VALU_DEP_1) | instskip(SKIP_2) | instid1(VALU_DEP_2)
	v_dual_fmac_f32 v253, 0x3f3d2fb0, v173 :: v_dual_add_f32 v60, v60, v62
	v_fmamk_f32 v62, v162, 0xbf59a7d5, v72
	v_fma_f32 v72, 0xbf59a7d5, v162, -v72
	v_dual_add_f32 v62, v62, v63 :: v_dual_fmamk_f32 v63, v164, 0x3f3d2fb0, v73
	s_delay_alu instid0(VALU_DEP_2) | instskip(SKIP_1) | instid1(VALU_DEP_3)
	v_add_f32_e32 v72, v72, v77
	v_fma_f32 v73, 0x3f3d2fb0, v164, -v73
	v_dual_add_f32 v62, v63, v62 :: v_dual_fmamk_f32 v63, v166, 0x3ee437d1, v254
	s_delay_alu instid0(VALU_DEP_2) | instskip(NEXT) | instid1(VALU_DEP_2)
	v_add_f32_e32 v72, v73, v72
	v_dual_add_f32 v62, v63, v62 :: v_dual_fmamk_f32 v63, v168, 0xbf7ba420, v255
	s_delay_alu instid0(VALU_DEP_1) | instskip(NEXT) | instid1(VALU_DEP_1)
	v_dual_add_f32 v62, v63, v62 :: v_dual_fmamk_f32 v63, v170, 0x3dbcf732, v137
	v_add_f32_e32 v62, v63, v62
	v_fma_f32 v63, 0xbf59a7d5, v161, -v139
	v_fmac_f32_e32 v139, 0xbf59a7d5, v161
	s_delay_alu instid0(VALU_DEP_2) | instskip(NEXT) | instid1(VALU_DEP_2)
	v_dual_mul_f32 v214, 0x3f7ee86f, v194 :: v_dual_add_f32 v63, v63, v81
	v_add_f32_e32 v73, v139, v76
	v_mul_f32_e32 v81, 0xbeb8f4ab, v191
	v_fma_f32 v76, 0x3f3d2fb0, v168, -v231
	v_fmac_f32_e32 v248, 0x3f6eb680, v165
	s_delay_alu instid0(VALU_DEP_3) | instskip(NEXT) | instid1(VALU_DEP_1)
	v_fmamk_f32 v64, v172, 0x3f6eb680, v81
	v_add_f32_e32 v62, v64, v62
	v_fma_f32 v64, 0x3f3d2fb0, v163, -v158
	s_delay_alu instid0(VALU_DEP_1) | instskip(SKIP_1) | instid1(VALU_DEP_1)
	v_add_f32_e32 v63, v64, v63
	v_fma_f32 v64, 0x3ee437d1, v165, -v142
	v_dual_fmac_f32 v142, 0x3ee437d1, v165 :: v_dual_add_f32 v63, v64, v63
	v_fma_f32 v64, 0xbf7ba420, v167, -v143
	s_delay_alu instid0(VALU_DEP_1) | instskip(SKIP_1) | instid1(VALU_DEP_1)
	v_add_f32_e32 v63, v64, v63
	v_fma_f32 v64, 0x3dbcf732, v169, -v144
	v_add_f32_e32 v63, v64, v63
	v_mul_f32_e32 v145, 0xbeb8f4ab, v201
	v_mul_f32_e32 v201, 0xbf763a35, v201
	v_fmac_f32_e32 v158, 0x3f3d2fb0, v163
	s_delay_alu instid0(VALU_DEP_3) | instskip(NEXT) | instid1(VALU_DEP_1)
	v_fma_f32 v64, 0x3f6eb680, v171, -v145
	v_dual_add_f32 v64, v64, v63 :: v_dual_fmamk_f32 v63, v174, 0xbf1a4643, v146
	v_fmac_f32_e32 v145, 0x3f6eb680, v171
	s_delay_alu instid0(VALU_DEP_2) | instskip(SKIP_1) | instid1(VALU_DEP_1)
	v_add_f32_e32 v63, v63, v62
	v_fma_f32 v62, 0xbf1a4643, v173, -v147
	v_add_f32_e32 v62, v62, v64
	v_fmamk_f32 v64, v162, 0xbe8c1d8e, v148
	s_delay_alu instid0(VALU_DEP_1) | instskip(NEXT) | instid1(VALU_DEP_1)
	v_dual_add_f32 v64, v64, v205 :: v_dual_mul_f32 v205, 0xbeb8f4ab, v226
	v_fmamk_f32 v65, v164, 0x3f6eb680, v205
	s_delay_alu instid0(VALU_DEP_1) | instskip(NEXT) | instid1(VALU_DEP_1)
	v_dual_add_f32 v64, v65, v64 :: v_dual_fmamk_f32 v65, v166, 0xbf59a7d5, v149
	v_dual_fmac_f32 v143, 0xbf7ba420, v167 :: v_dual_add_f32 v64, v65, v64
	v_fmamk_f32 v65, v168, 0x3dbcf732, v150
	s_delay_alu instid0(VALU_DEP_1) | instskip(SKIP_1) | instid1(VALU_DEP_1)
	v_dual_fmac_f32 v147, 0xbf1a4643, v173 :: v_dual_add_f32 v64, v65, v64
	v_fmamk_f32 v65, v170, 0x3f3d2fb0, v151
	v_add_f32_e32 v64, v65, v64
	v_fma_f32 v65, 0xbe8c1d8e, v161, -v152
	s_delay_alu instid0(VALU_DEP_2) | instskip(NEXT) | instid1(VALU_DEP_2)
	v_add_f32_e32 v64, v66, v64
	v_add_f32_e32 v65, v65, v80
	v_fma_f32 v66, 0x3f6eb680, v163, -v154
	s_delay_alu instid0(VALU_DEP_1) | instskip(SKIP_2) | instid1(VALU_DEP_2)
	v_dual_mul_f32 v80, 0x3f4c4adb, v182 :: v_dual_add_f32 v65, v66, v65
	v_fma_f32 v66, 0xbf59a7d5, v165, -v155
	v_fmac_f32_e32 v144, 0x3dbcf732, v169
	v_add_f32_e32 v65, v66, v65
	v_fma_f32 v66, 0x3dbcf732, v167, -v156
	s_delay_alu instid0(VALU_DEP_1) | instskip(SKIP_1) | instid1(VALU_DEP_1)
	v_add_f32_e32 v65, v66, v65
	v_fma_f32 v66, 0x3f3d2fb0, v169, -v157
	v_add_f32_e32 v65, v66, v65
	v_fma_f32 v66, 0xbf7ba420, v171, -v84
	v_fmac_f32_e32 v152, 0xbe8c1d8e, v161
	s_delay_alu instid0(VALU_DEP_2) | instskip(SKIP_2) | instid1(VALU_DEP_2)
	v_add_f32_e32 v66, v66, v65
	v_fmamk_f32 v65, v174, 0x3ee437d1, v218
	v_fmac_f32_e32 v155, 0xbf59a7d5, v165
	v_add_f32_e32 v65, v65, v64
	v_fma_f32 v64, 0x3ee437d1, v173, -v177
	s_delay_alu instid0(VALU_DEP_1) | instskip(SKIP_2) | instid1(VALU_DEP_2)
	v_add_f32_e32 v64, v64, v66
	v_fmamk_f32 v66, v162, 0x3ee437d1, v70
	v_fma_f32 v70, 0x3ee437d1, v162, -v70
	v_add_f32_e32 v66, v66, v206
	v_mul_f32_e32 v206, 0xbeb8f4ab, v186
	s_delay_alu instid0(VALU_DEP_2) | instskip(SKIP_1) | instid1(VALU_DEP_1)
	v_dual_fmac_f32 v157, 0x3f3d2fb0, v169 :: v_dual_add_f32 v66, v67, v66
	v_fmamk_f32 v67, v166, 0xbf1a4643, v80
	v_dual_add_f32 v66, v67, v66 :: v_dual_fmamk_f32 v67, v168, 0x3f6eb680, v206
	s_delay_alu instid0(VALU_DEP_1) | instskip(NEXT) | instid1(VALU_DEP_1)
	v_dual_add_f32 v66, v67, v66 :: v_dual_fmamk_f32 v67, v170, 0xbf7ba420, v178
	v_add_f32_e32 v66, v67, v66
	v_fma_f32 v67, 0x3ee437d1, v161, -v180
	s_delay_alu instid0(VALU_DEP_1) | instskip(SKIP_1) | instid1(VALU_DEP_1)
	v_add_f32_e32 v67, v67, v79
	v_mul_f32_e32 v79, 0x3f2c7751, v191
	v_fmamk_f32 v68, v172, 0x3f3d2fb0, v79
	s_delay_alu instid0(VALU_DEP_1) | instskip(SKIP_1) | instid1(VALU_DEP_1)
	v_add_f32_e32 v66, v68, v66
	v_fma_f32 v68, 0x3dbcf732, v163, -v181
	v_add_f32_e32 v67, v68, v67
	v_fma_f32 v68, 0xbf1a4643, v165, -v183
	s_delay_alu instid0(VALU_DEP_1) | instskip(SKIP_1) | instid1(VALU_DEP_1)
	v_add_f32_e32 v67, v68, v67
	v_fma_f32 v68, 0x3f6eb680, v167, -v184
	v_add_f32_e32 v67, v68, v67
	v_fma_f32 v68, 0xbf7ba420, v169, -v185
	v_fmac_f32_e32 v185, 0xbf7ba420, v169
	s_delay_alu instid0(VALU_DEP_2) | instskip(SKIP_1) | instid1(VALU_DEP_1)
	v_dual_mul_f32 v200, 0x3f65296c, v200 :: v_dual_add_f32 v67, v68, v67
	v_fma_f32 v68, 0x3f3d2fb0, v171, -v187
	v_dual_add_f32 v68, v68, v67 :: v_dual_fmamk_f32 v67, v174, 0xbe8c1d8e, v189
	v_fma_f32 v71, 0x3dbcf732, v164, -v71
	s_delay_alu instid0(VALU_DEP_2) | instskip(SKIP_2) | instid1(VALU_DEP_2)
	v_add_f32_e32 v67, v67, v66
	v_fma_f32 v66, 0xbe8c1d8e, v173, -v190
	v_fmac_f32_e32 v156, 0x3dbcf732, v167
	v_add_f32_e32 v66, v66, v68
	v_fmamk_f32 v68, v162, 0x3f6eb680, v192
	s_delay_alu instid0(VALU_DEP_1) | instskip(SKIP_2) | instid1(VALU_DEP_3)
	v_dual_add_f32 v68, v68, v207 :: v_dual_mul_f32 v207, 0xbf06c442, v226
	v_fmac_f32_e32 v181, 0x3dbcf732, v163
	v_mul_f32_e32 v196, 0x3eb8f4ab, v196
	v_fmamk_f32 v69, v164, 0xbf59a7d5, v207
	s_delay_alu instid0(VALU_DEP_1) | instskip(NEXT) | instid1(VALU_DEP_1)
	v_dual_add_f32 v68, v69, v68 :: v_dual_fmamk_f32 v69, v166, 0x3f3d2fb0, v193
	v_dual_fmac_f32 v183, 0xbf1a4643, v165 :: v_dual_add_f32 v68, v69, v68
	v_fmamk_f32 v69, v168, 0xbf1a4643, v195
	v_fmac_f32_e32 v187, 0x3f3d2fb0, v171
	v_mul_f32_e32 v202, 0x3f7ee86f, v202
	s_delay_alu instid0(VALU_DEP_3) | instskip(NEXT) | instid1(VALU_DEP_1)
	v_dual_add_f32 v68, v69, v68 :: v_dual_fmamk_f32 v69, v170, 0x3ee437d1, v159
	v_add_f32_e32 v68, v69, v68
	v_fma_f32 v69, 0x3f6eb680, v161, -v196
	s_delay_alu instid0(VALU_DEP_1) | instskip(NEXT) | instid1(VALU_DEP_1)
	v_dual_add_f32 v69, v69, v78 :: v_dual_fmamk_f32 v78, v172, 0xbe8c1d8e, v160
	v_add_f32_e32 v68, v78, v68
	v_fma_f32 v78, 0xbf59a7d5, v163, -v197
	s_delay_alu instid0(VALU_DEP_1) | instskip(SKIP_2) | instid1(VALU_DEP_2)
	v_add_f32_e32 v69, v78, v69
	v_fma_f32 v78, 0x3f3d2fb0, v165, -v198
	v_fmac_f32_e32 v180, 0x3ee437d1, v161
	v_add_f32_e32 v69, v78, v69
	v_fma_f32 v78, 0xbf1a4643, v167, -v199
	s_delay_alu instid0(VALU_DEP_1) | instskip(SKIP_1) | instid1(VALU_DEP_1)
	v_add_f32_e32 v69, v78, v69
	v_fma_f32 v78, 0x3ee437d1, v169, -v200
	v_add_f32_e32 v69, v78, v69
	v_fma_f32 v78, 0xbe8c1d8e, v171, -v201
	v_dual_fmac_f32 v190, 0xbe8c1d8e, v173 :: v_dual_fmac_f32 v201, 0xbe8c1d8e, v171
	s_delay_alu instid0(VALU_DEP_2) | instskip(SKIP_1) | instid1(VALU_DEP_1)
	v_add_f32_e32 v78, v78, v69
	v_fmamk_f32 v69, v174, 0x3dbcf732, v214
	v_add_f32_e32 v69, v69, v68
	v_fma_f32 v68, 0x3dbcf732, v173, -v202
	s_delay_alu instid0(VALU_DEP_1) | instskip(SKIP_3) | instid1(VALU_DEP_1)
	v_add_f32_e32 v68, v68, v78
	scratch_load_b32 v78, off, off offset:144 th:TH_LOAD_LU ; 4-byte Folded Reload
	s_wait_loadcnt 0x0
	v_add_f32_e32 v70, v70, v78
	v_add_f32_e32 v70, v71, v70
	v_fma_f32 v71, 0xbf1a4643, v166, -v80
	s_delay_alu instid0(VALU_DEP_1) | instskip(SKIP_1) | instid1(VALU_DEP_1)
	v_dual_add_f32 v70, v71, v70 :: v_dual_add_f32 v71, v180, v75
	v_fma_f32 v75, 0x3f6eb680, v168, -v206
	v_dual_add_f32 v71, v181, v71 :: v_dual_add_f32 v70, v75, v70
	v_fma_f32 v75, 0xbf7ba420, v170, -v178
	v_fmac_f32_e32 v197, 0xbf59a7d5, v163
	s_delay_alu instid0(VALU_DEP_3) | instskip(NEXT) | instid1(VALU_DEP_3)
	v_add_f32_e32 v71, v183, v71
	v_add_f32_e32 v70, v75, v70
	v_fma_f32 v75, 0x3f3d2fb0, v172, -v79
	v_mul_f32_e32 v79, 0x3ee437d1, v163
	v_mul_f32_e32 v78, 0x3f3d2fb0, v161
	s_delay_alu instid0(VALU_DEP_3) | instskip(NEXT) | instid1(VALU_DEP_3)
	v_dual_fmac_f32 v199, 0xbf1a4643, v167 :: v_dual_add_f32 v70, v75, v70
	v_add_f32_e32 v79, v79, v55
	v_fmac_f32_e32 v184, 0x3f6eb680, v167
	s_delay_alu instid0(VALU_DEP_4) | instskip(SKIP_1) | instid1(VALU_DEP_3)
	v_dual_mul_f32 v77, 0xbf65296c, v226 :: v_dual_add_f32 v78, v78, v176
	v_fmac_f32_e32 v238, 0x3dbcf732, v171
	v_add_f32_e32 v71, v184, v71
	s_delay_alu instid0(VALU_DEP_3) | instskip(SKIP_1) | instid1(VALU_DEP_3)
	v_sub_f32_e32 v77, v140, v77
	v_fmac_f32_e32 v237, 0x3f6eb680, v169
	v_dual_add_f32 v71, v185, v71 :: v_dual_fmac_f32 v200, 0x3ee437d1, v169
	s_delay_alu instid0(VALU_DEP_1) | instskip(SKIP_1) | instid1(VALU_DEP_1)
	v_add_f32_e32 v75, v187, v71
	v_fma_f32 v71, 0xbe8c1d8e, v174, -v189
	v_dual_add_f32 v71, v71, v70 :: v_dual_add_f32 v70, v190, v75
	v_fma_f32 v75, 0x3ee437d1, v166, -v254
	v_mov_b32_e32 v254, v52
	scratch_load_b32 v52, off, off offset:140 th:TH_LOAD_LU ; 4-byte Folded Reload
	v_add_f32_e32 v72, v75, v72
	v_fma_f32 v75, 0xbf7ba420, v168, -v255
	v_dual_add_f32 v73, v158, v73 :: v_dual_mov_b32 v158, v129
	s_delay_alu instid0(VALU_DEP_2) | instskip(SKIP_1) | instid1(VALU_DEP_3)
	v_dual_mov_b32 v255, v53 :: v_dual_add_f32 v72, v75, v72
	v_fma_f32 v75, 0x3dbcf732, v170, -v137
	v_add_f32_e32 v73, v142, v73
	v_fma_f32 v137, 0x3dbcf732, v174, -v214
	s_delay_alu instid0(VALU_DEP_3) | instskip(NEXT) | instid1(VALU_DEP_3)
	v_add_f32_e32 v72, v75, v72
	v_add_f32_e32 v73, v143, v73
	v_fma_f32 v75, 0x3f6eb680, v172, -v81
	v_fma_f32 v81, 0xbe8c1d8e, v164, -v242
	s_delay_alu instid0(VALU_DEP_2) | instskip(NEXT) | instid1(VALU_DEP_1)
	v_dual_add_f32 v73, v144, v73 :: v_dual_add_f32 v72, v75, v72
	v_add_f32_e32 v75, v145, v73
	v_fma_f32 v73, 0xbf1a4643, v174, -v146
	s_delay_alu instid0(VALU_DEP_1) | instskip(SKIP_2) | instid1(VALU_DEP_2)
	v_dual_add_f32 v73, v73, v72 :: v_dual_add_f32 v72, v147, v75
	v_fma_f32 v75, 0xbf1a4643, v162, -v228
	v_mov_b32_e32 v147, v127
	v_add_f32_e32 v74, v75, v74
	v_fma_f32 v75, 0xbf7ba420, v164, -v229
	s_delay_alu instid0(VALU_DEP_1) | instskip(SKIP_2) | instid1(VALU_DEP_1)
	v_add_f32_e32 v74, v75, v74
	v_fma_f32 v75, 0xbe8c1d8e, v166, -v230
	s_wait_loadcnt 0x0
	v_dual_add_f32 v74, v75, v74 :: v_dual_add_f32 v75, v233, v52
	scratch_load_b32 v52, off, off offset:136 th:TH_LOAD_LU ; 4-byte Folded Reload
	v_add_f32_e32 v74, v76, v74
	v_fma_f32 v76, 0x3f6eb680, v170, -v232
	s_delay_alu instid0(VALU_DEP_1) | instskip(SKIP_3) | instid1(VALU_DEP_2)
	v_dual_add_f32 v75, v234, v75 :: v_dual_add_f32 v74, v76, v74
	v_fma_f32 v76, 0x3dbcf732, v172, -v83
	v_fmac_f32_e32 v235, 0xbe8c1d8e, v165
	v_fma_f32 v83, 0xbf59a7d5, v170, -v245
	v_dual_add_f32 v74, v76, v74 :: v_dual_add_f32 v75, v235, v75
	v_fmac_f32_e32 v236, 0x3f3d2fb0, v167
	s_delay_alu instid0(VALU_DEP_1) | instskip(NEXT) | instid1(VALU_DEP_1)
	v_add_f32_e32 v75, v236, v75
	v_add_f32_e32 v75, v237, v75
	s_delay_alu instid0(VALU_DEP_1) | instskip(SKIP_1) | instid1(VALU_DEP_1)
	v_add_f32_e32 v76, v238, v75
	v_fma_f32 v75, 0xbf59a7d5, v174, -v239
	v_dual_add_f32 v75, v75, v74 :: v_dual_add_f32 v74, v240, v76
	v_mul_f32_e32 v76, 0xbf2c7751, v179
	s_delay_alu instid0(VALU_DEP_1) | instskip(SKIP_1) | instid1(VALU_DEP_1)
	v_sub_f32_e32 v76, v54, v76
	s_wait_loadcnt 0x0
	v_add_f32_e32 v76, v76, v52
	scratch_load_b32 v52, off, off offset:132 th:TH_LOAD_LU ; 4-byte Folded Reload
	v_dual_add_f32 v76, v77, v76 :: v_dual_mul_f32 v77, 0xbf7ee86f, v182
	s_delay_alu instid0(VALU_DEP_1) | instskip(NEXT) | instid1(VALU_DEP_1)
	v_sub_f32_e32 v77, v213, v77
	v_dual_add_f32 v76, v77, v76 :: v_dual_mul_f32 v77, 0xbf763a35, v186
	s_delay_alu instid0(VALU_DEP_1) | instskip(NEXT) | instid1(VALU_DEP_1)
	v_sub_f32_e32 v77, v219, v77
	v_add_f32_e32 v76, v77, v76
	s_wait_loadcnt 0x0
	v_add_f32_e32 v78, v78, v52
	scratch_load_b32 v52, off, off offset:124 th:TH_LOAD_LU ; 4-byte Folded Reload
	v_dual_add_f32 v78, v79, v78 :: v_dual_mul_f32 v79, 0x3dbcf732, v165
	s_delay_alu instid0(VALU_DEP_1) | instskip(NEXT) | instid1(VALU_DEP_1)
	v_add_f32_e32 v79, v79, v212
	v_dual_mul_f32 v77, 0xbf4c4adb, v188 :: v_dual_add_f32 v78, v79, v78
	s_delay_alu instid0(VALU_DEP_1) | instskip(NEXT) | instid1(VALU_DEP_1)
	v_sub_f32_e32 v77, v175, v77
	v_dual_mul_f32 v79, 0xbe8c1d8e, v167 :: v_dual_add_f32 v76, v77, v76
	v_mul_f32_e32 v77, 0xbf06c442, v191
	s_delay_alu instid0(VALU_DEP_1) | instskip(NEXT) | instid1(VALU_DEP_1)
	v_sub_f32_e32 v77, v215, v77
	v_dual_add_f32 v79, v79, v211 :: v_dual_add_f32 v76, v77, v76
	s_delay_alu instid0(VALU_DEP_1) | instskip(NEXT) | instid1(VALU_DEP_1)
	v_dual_add_f32 v78, v79, v78 :: v_dual_mul_f32 v79, 0xbf1a4643, v169
	v_add_f32_e32 v79, v79, v58
	s_delay_alu instid0(VALU_DEP_1) | instskip(NEXT) | instid1(VALU_DEP_1)
	v_dual_add_f32 v77, v79, v78 :: v_dual_mul_f32 v78, 0xbf59a7d5, v171
	v_dual_add_f32 v78, v78, v217 :: v_dual_mul_f32 v79, 0xbe3c28d5, v194
	s_delay_alu instid0(VALU_DEP_1) | instskip(SKIP_1) | instid1(VALU_DEP_1)
	v_add_f32_e32 v78, v78, v77
	v_mul_f32_e32 v77, 0xbf7ba420, v173
	v_dual_sub_f32 v79, v208, v79 :: v_dual_add_f32 v80, v77, v216
	s_delay_alu instid0(VALU_DEP_1) | instskip(SKIP_2) | instid1(VALU_DEP_4)
	v_add_f32_e32 v77, v79, v76
	v_fma_f32 v79, 0xbf1a4643, v164, -v136
	v_fma_f32 v136, 0xbf7ba420, v172, -v153
	v_add_f32_e32 v76, v80, v78
	v_fma_f32 v80, 0xbf59a7d5, v168, -v203
	s_wait_loadcnt 0x0
	v_fma_f32 v78, 0x3dbcf732, v162, -v52
	scratch_load_b32 v52, off, off offset:120 th:TH_LOAD_LU ; 4-byte Folded Reload
	s_wait_loadcnt 0x0
	v_add_f32_e32 v78, v78, v52
	scratch_load_b32 v52, off, off offset:116 th:TH_LOAD_LU ; 4-byte Folded Reload
	v_add_f32_e32 v78, v79, v78
	v_fma_f32 v79, 0xbf7ba420, v166, -v135
	v_fma_f32 v135, 0x3dbcf732, v168, -v150
	s_wait_loadcnt 0x0
	s_delay_alu instid0(VALU_DEP_2)
	v_dual_add_f32 v78, v79, v78 :: v_dual_add_f32 v79, v220, v52
	scratch_load_b32 v52, off, off offset:128 th:TH_LOAD_LU ; 4-byte Folded Reload
	v_add_f32_e32 v78, v80, v78
	s_wait_loadcnt 0x0
	v_fma_f32 v80, 0xbe8c1d8e, v170, -v52
	scratch_load_b32 v52, off, off offset:112 th:TH_LOAD_LU ; 4-byte Folded Reload
	v_fmac_f32_e32 v221, 0xbf1a4643, v163
	v_dual_fmac_f32 v225, 0x3ee437d1, v171 :: v_dual_add_f32 v78, v80, v78
	v_fma_f32 v80, 0x3ee437d1, v172, -v204
	s_delay_alu instid0(VALU_DEP_1) | instskip(NEXT) | instid1(VALU_DEP_1)
	v_dual_add_f32 v79, v221, v79 :: v_dual_add_f32 v78, v80, v78
	v_add_f32_e32 v79, v222, v79
	s_delay_alu instid0(VALU_DEP_1) | instskip(NEXT) | instid1(VALU_DEP_1)
	v_add_f32_e32 v79, v223, v79
	v_add_f32_e32 v79, v224, v79
	s_delay_alu instid0(VALU_DEP_1) | instskip(SKIP_1) | instid1(VALU_DEP_1)
	v_add_f32_e32 v80, v225, v79
	v_fma_f32 v79, 0x3f6eb680, v174, -v59
	v_add_f32_e32 v79, v79, v78
	s_delay_alu instid0(VALU_DEP_3) | instskip(SKIP_2) | instid1(VALU_DEP_1)
	v_add_f32_e32 v78, v227, v80
	v_fma_f32 v80, 0xbf7ba420, v162, -v241
	s_wait_loadcnt 0x0
	v_add_f32_e32 v80, v80, v52
	scratch_load_b32 v52, off, off offset:108 th:TH_LOAD_LU ; 4-byte Folded Reload
	v_add_f32_e32 v80, v81, v80
	v_fma_f32 v81, 0x3f6eb680, v166, -v243
	s_delay_alu instid0(VALU_DEP_1) | instskip(SKIP_1) | instid1(VALU_DEP_1)
	v_add_f32_e32 v80, v81, v80
	v_fma_f32 v81, 0x3ee437d1, v168, -v244
	v_add_f32_e32 v80, v81, v80
	s_wait_loadcnt 0x0
	v_add_f32_e32 v81, v246, v52
	s_delay_alu instid0(VALU_DEP_1) | instskip(NEXT) | instid1(VALU_DEP_3)
	v_add_f32_e32 v81, v247, v81
	v_add_f32_e32 v80, v83, v80
	v_fma_f32 v83, 0x3f6eb680, v164, -v205
	v_fmac_f32_e32 v251, 0xbf1a4643, v171
	v_fmac_f32_e32 v249, 0x3ee437d1, v167
	s_delay_alu instid0(VALU_DEP_4) | instskip(SKIP_4) | instid1(VALU_DEP_2)
	v_dual_add_f32 v81, v248, v81 :: v_dual_add_f32 v80, v82, v80
	v_fmac_f32_e32 v250, 0xbf59a7d5, v169
	scratch_load_b32 v247, off, off offset:4 ; 4-byte Folded Reload
	v_add_f32_e32 v81, v249, v81
	v_mov_b32_e32 v249, v125
	v_add_f32_e32 v81, v250, v81
	scratch_load_b32 v250, off, off offset:12 ; 4-byte Folded Reload
	v_add_f32_e32 v82, v251, v81
	v_fma_f32 v81, 0x3f3d2fb0, v174, -v252
	scratch_load_b32 v252, off, off offset:24 ; 4-byte Folded Reload
	v_add_f32_e32 v81, v81, v80
	v_add_f32_e32 v80, v253, v82
	s_clause 0x2
	scratch_load_b32 v253, off, off offset:28
	scratch_load_b32 v251, off, off offset:8
	scratch_load_b32 v248, off, off
	v_fma_f32 v82, 0xbe8c1d8e, v162, -v148
	s_clause 0x1
	scratch_load_b32 v148, off, off offset:76
	scratch_load_b32 v52, off, off offset:104 th:TH_LOAD_LU
	s_wait_loadcnt 0x0
	v_add_f32_e32 v82, v82, v52
	scratch_load_b32 v52, off, off offset:100 th:TH_LOAD_LU ; 4-byte Folded Reload
	v_add_f32_e32 v82, v83, v82
	v_fma_f32 v83, 0xbf59a7d5, v166, -v149
	v_mov_b32_e32 v149, v126
	scratch_load_b64 v[125:126], off, off offset:16 ; 8-byte Folded Reload
	v_add_f32_e32 v82, v83, v82
	s_delay_alu instid0(VALU_DEP_1) | instskip(SKIP_1) | instid1(VALU_DEP_1)
	v_add_f32_e32 v82, v135, v82
	v_fma_f32 v135, 0x3f3d2fb0, v170, -v151
	v_add_f32_e32 v82, v135, v82
	v_fma_f32 v135, 0x3f6eb680, v162, -v192
	s_wait_loadcnt 0x1
	v_dual_fmac_f32 v154, 0x3f6eb680, v163 :: v_dual_add_f32 v83, v152, v52
	v_mov_b32_e32 v152, v128
	s_clause 0x2
	scratch_load_b32 v150, off, off offset:80
	scratch_load_b64 v[127:128], off, off offset:60
	scratch_load_b32 v151, off, off offset:68
	v_dual_add_f32 v83, v154, v83 :: v_dual_mov_b32 v154, v132
	s_delay_alu instid0(VALU_DEP_1)
	v_dual_fmac_f32 v196, 0x3f6eb680, v161 :: v_dual_add_f32 v83, v155, v83
	s_clause 0x2
	scratch_load_b32 v155, off, off offset:72
	scratch_load_b32 v52, off, off offset:96 th:TH_LOAD_LU
	scratch_load_b32 v153, off, off offset:52
	s_wait_loadcnt 0x1
	v_add_f32_e32 v59, v135, v52
	scratch_load_b32 v52, off, off offset:92 th:TH_LOAD_LU ; 4-byte Folded Reload
	v_fma_f32 v135, 0xbf59a7d5, v164, -v207
	s_delay_alu instid0(VALU_DEP_1) | instskip(SKIP_3) | instid1(VALU_DEP_3)
	v_add_f32_e32 v59, v135, v59
	v_fma_f32 v135, 0x3f3d2fb0, v166, -v193
	v_add_f32_e32 v82, v136, v82
	v_fma_f32 v136, 0x3ee437d1, v174, -v218
	;; [unrolled: 2-line block ×3, first 2 shown]
	s_delay_alu instid0(VALU_DEP_1)
	v_add_f32_e32 v59, v135, v59
	v_fma_f32 v135, 0x3ee437d1, v170, -v159
	v_mov_b32_e32 v159, v130
	v_dual_add_f32 v83, v156, v83 :: v_dual_fmac_f32 v198, 0x3f3d2fb0, v165
	s_clause 0x1
	scratch_load_b32 v156, off, off offset:56
	scratch_load_b64 v[129:130], off, off offset:32
	v_add_f32_e32 v83, v157, v83
	scratch_load_b32 v157, off, off offset:48 ; 4-byte Folded Reload
	s_wait_loadcnt 0x3
	v_add_f32_e32 v58, v196, v52
	scratch_load_b64 v[52:53], off, off offset:84 th:TH_LOAD_LU ; 8-byte Folded Reload
	v_add_f32_e32 v58, v197, v58
	s_delay_alu instid0(VALU_DEP_1) | instskip(NEXT) | instid1(VALU_DEP_1)
	v_add_f32_e32 v58, v198, v58
	v_add_f32_e32 v58, v199, v58
	;; [unrolled: 1-line block ×3, first 2 shown]
	v_mul_lo_u16 v135, v250, 17
	s_delay_alu instid0(VALU_DEP_3) | instskip(SKIP_1) | instid1(VALU_DEP_3)
	v_add_f32_e32 v58, v200, v58
	v_fmac_f32_e32 v84, 0xbf7ba420, v171
	v_and_b32_e32 v135, 0xffff, v135
	s_delay_alu instid0(VALU_DEP_3) | instskip(NEXT) | instid1(VALU_DEP_3)
	v_dual_fmac_f32 v202, 0x3dbcf732, v173 :: v_dual_add_f32 v139, v201, v58
	v_add_f32_e32 v83, v84, v83
	v_fma_f32 v84, 0xbe8c1d8e, v172, -v160
	v_mov_b32_e32 v160, v131
	scratch_load_b64 v[131:132], off, off offset:40 ; 8-byte Folded Reload
	v_fmac_f32_e32 v177, 0x3ee437d1, v173
	v_lshlrev_b32_e32 v135, 3, v135
	v_add_f32_e32 v84, v84, v59
	v_dual_add_f32 v59, v136, v82 :: v_dual_add_f32 v82, v202, v139
	s_delay_alu instid0(VALU_DEP_4) | instskip(NEXT) | instid1(VALU_DEP_3)
	v_add_f32_e32 v58, v177, v83
	v_add_f32_e32 v83, v137, v84
	s_wait_loadcnt 0x1
	ds_store_2addr_b64 v135, v[52:53], v[76:77] offset1:1
	ds_store_2addr_b64 v135, v[78:79], v[74:75] offset0:2 offset1:3
	ds_store_2addr_b64 v135, v[80:81], v[72:73] offset0:4 offset1:5
	;; [unrolled: 1-line block ×7, first 2 shown]
	ds_store_b64 v135, v[133:134] offset:128
.LBB0_17:
	s_wait_alu 0xfffe
	s_or_b32 exec_lo, exec_lo, s1
	v_add_nc_u32_e32 v84, 0x1c00, v141
	v_add_nc_u32_e32 v135, 0x2400, v141
	global_wb scope:SCOPE_SE
	s_wait_storecnt 0x0
	s_wait_loadcnt_dscnt 0x0
	s_barrier_signal -1
	s_barrier_wait -1
	global_inv scope:SCOPE_SE
	ds_load_2addr_b64 v[52:55], v84 offset0:56 offset1:175
	ds_load_2addr_b64 v[56:59], v135 offset0:38 offset1:157
	ds_load_2addr_b64 v[60:63], v141 offset1:119
	v_add_nc_u32_e32 v137, 0x400, v141
	v_add_nc_u32_e32 v139, 0xc00, v141
	;; [unrolled: 1-line block ×3, first 2 shown]
	s_wait_dscnt 0x1
	v_dual_mul_f32 v143, v96, v53 :: v_dual_mul_f32 v146, v94, v59
	v_mul_f32_e32 v96, v96, v52
	v_mul_f32_e32 v144, v98, v55
	v_dual_mul_f32 v98, v98, v54 :: v_dual_mul_f32 v145, v100, v57
	s_delay_alu instid0(VALU_DEP_4) | instskip(NEXT) | instid1(VALU_DEP_4)
	v_fmac_f32_e32 v143, v95, v52
	v_fma_f32 v53, v95, v53, -v96
	s_delay_alu instid0(VALU_DEP_4) | instskip(NEXT) | instid1(VALU_DEP_4)
	v_fmac_f32_e32 v144, v97, v54
	v_dual_fmac_f32 v145, v99, v56 :: v_dual_add_nc_u32 v136, 0x2c00, v141
	s_wait_dscnt 0x0
	s_delay_alu instid0(VALU_DEP_3) | instskip(SKIP_2) | instid1(VALU_DEP_3)
	v_dual_mul_f32 v100, v100, v56 :: v_dual_sub_f32 v53, v61, v53
	v_fma_f32 v55, v97, v55, -v98
	v_add_nc_u32_e32 v142, 0x3000, v141
	v_fma_f32 v95, v99, v57, -v100
	s_delay_alu instid0(VALU_DEP_3)
	v_sub_f32_e32 v57, v63, v55
	ds_load_2addr_b64 v[64:67], v136 offset0:20 offset1:139
	ds_load_2addr_b64 v[68:71], v137 offset0:110 offset1:229
	;; [unrolled: 1-line block ×5, first 2 shown]
	v_mul_f32_e32 v52, v94, v58
	v_fmac_f32_e32 v146, v93, v58
	v_fma_f32 v55, v61, 2.0, -v53
	v_fma_f32 v61, v63, 2.0, -v57
	global_wb scope:SCOPE_SE
	s_wait_dscnt 0x0
	v_fma_f32 v93, v93, v59, -v52
	s_barrier_signal -1
	s_barrier_wait -1
	global_inv scope:SCOPE_SE
	v_mul_f32_e32 v54, v92, v64
	v_dual_mul_f32 v94, v92, v65 :: v_dual_sub_f32 v59, v69, v95
	v_mul_f32_e32 v92, v90, v67
	v_mul_f32_e32 v52, v90, v66
	s_delay_alu instid0(VALU_DEP_4) | instskip(SKIP_4) | instid1(VALU_DEP_4)
	v_fma_f32 v90, v91, v65, -v54
	v_mul_f32_e32 v54, v88, v80
	v_dual_fmac_f32 v94, v91, v64 :: v_dual_mul_f32 v91, v88, v81
	v_mul_f32_e32 v88, v86, v83
	v_mul_f32_e32 v56, v86, v82
	v_fma_f32 v81, v87, v81, -v54
	s_delay_alu instid0(VALU_DEP_4) | instskip(NEXT) | instid1(VALU_DEP_4)
	v_dual_sub_f32 v58, v68, v145 :: v_dual_fmac_f32 v91, v87, v80
	v_fmac_f32_e32 v88, v85, v82
	s_delay_alu instid0(VALU_DEP_4)
	v_fma_f32 v83, v85, v83, -v56
	v_fmac_f32_e32 v92, v89, v66
	v_dual_sub_f32 v56, v62, v144 :: v_dual_sub_f32 v65, v71, v93
	v_dual_sub_f32 v64, v70, v146 :: v_dual_sub_f32 v81, v77, v81
	v_fma_f32 v89, v89, v67, -v52
	v_sub_f32_e32 v52, v60, v143
	v_sub_f32_e32 v66, v72, v94
	;; [unrolled: 1-line block ×3, first 2 shown]
	v_fma_f32 v63, v69, 2.0, -v59
	v_fma_f32 v69, v71, 2.0, -v65
	;; [unrolled: 1-line block ×6, first 2 shown]
	v_dual_sub_f32 v71, v75, v89 :: v_dual_sub_f32 v80, v76, v91
	v_dual_sub_f32 v82, v78, v88 :: v_dual_sub_f32 v83, v79, v83
	v_sub_f32_e32 v70, v74, v92
	v_fma_f32 v72, v72, 2.0, -v66
	v_fma_f32 v73, v73, 2.0, -v67
	;; [unrolled: 1-line block ×8, first 2 shown]
	ds_store_2addr_b64 v147, v[54:55], v[52:53] offset1:17
	ds_store_2addr_b64 v151, v[60:61], v[56:57] offset1:17
	;; [unrolled: 1-line block ×8, first 2 shown]
	global_wb scope:SCOPE_SE
	s_wait_dscnt 0x0
	s_barrier_signal -1
	s_barrier_wait -1
	global_inv scope:SCOPE_SE
	ds_load_2addr_b64 v[52:55], v84 offset0:56 offset1:175
	ds_load_2addr_b64 v[56:59], v135 offset0:38 offset1:157
	ds_load_2addr_b64 v[60:63], v141 offset1:119
	ds_load_2addr_b64 v[64:67], v136 offset0:20 offset1:139
	ds_load_2addr_b64 v[68:71], v137 offset0:110 offset1:229
	ds_load_2addr_b64 v[72:75], v139 offset0:92 offset1:211
	ds_load_2addr_b64 v[76:79], v140 offset0:74 offset1:193
	ds_load_2addr_b64 v[80:83], v142 offset0:130 offset1:249
	global_wb scope:SCOPE_SE
	s_wait_dscnt 0x0
	s_barrier_signal -1
	s_barrier_wait -1
	global_inv scope:SCOPE_SE
	v_mul_f32_e32 v85, v116, v52
	v_dual_mul_f32 v87, v114, v56 :: v_dual_mul_f32 v86, v112, v55
	v_dual_mul_f32 v89, v108, v65 :: v_dual_mul_f32 v90, v106, v67
	s_delay_alu instid0(VALU_DEP_2)
	v_fma_f32 v87, v113, v57, -v87
	v_mul_f32_e32 v84, v116, v53
	v_mul_f32_e32 v93, v104, v81
	v_fma_f32 v53, v115, v53, -v85
	v_dual_mul_f32 v85, v114, v57 :: v_dual_fmac_f32 v86, v111, v54
	v_mul_f32_e32 v95, v102, v83
	s_delay_alu instid0(VALU_DEP_4)
	v_fmac_f32_e32 v93, v103, v80
	v_fmac_f32_e32 v84, v115, v52
	v_mul_f32_e32 v52, v112, v54
	v_mul_f32_e32 v54, v108, v64
	v_dual_fmac_f32 v85, v113, v56 :: v_dual_mul_f32 v56, v102, v82
	v_fmac_f32_e32 v89, v107, v64
	s_delay_alu instid0(VALU_DEP_4) | instskip(NEXT) | instid1(VALU_DEP_4)
	v_fma_f32 v55, v111, v55, -v52
	v_fma_f32 v92, v107, v65, -v54
	v_mul_f32_e32 v54, v104, v80
	v_mul_f32_e32 v52, v110, v58
	v_fmac_f32_e32 v90, v105, v66
	v_fmac_f32_e32 v95, v101, v82
	v_sub_f32_e32 v53, v61, v53
	v_fma_f32 v80, v103, v81, -v54
	v_fma_f32 v81, v101, v83, -v56
	v_mul_f32_e32 v88, v110, v59
	v_fma_f32 v91, v109, v59, -v52
	v_mul_f32_e32 v52, v106, v66
	s_delay_alu instid0(VALU_DEP_4) | instskip(NEXT) | instid1(VALU_DEP_4)
	v_dual_sub_f32 v56, v62, v86 :: v_dual_sub_f32 v83, v79, v81
	v_dual_fmac_f32 v88, v109, v58 :: v_dual_sub_f32 v57, v63, v55
	s_delay_alu instid0(VALU_DEP_3) | instskip(SKIP_1) | instid1(VALU_DEP_3)
	v_fma_f32 v94, v105, v67, -v52
	v_dual_sub_f32 v58, v68, v85 :: v_dual_sub_f32 v59, v69, v87
	v_dual_sub_f32 v64, v70, v88 :: v_dual_sub_f32 v65, v71, v91
	v_sub_f32_e32 v85, v76, v93
	v_sub_f32_e32 v52, v60, v84
	v_dual_sub_f32 v66, v72, v89 :: v_dual_sub_f32 v67, v73, v92
	v_fma_f32 v55, v61, 2.0, -v53
	v_fma_f32 v61, v63, 2.0, -v57
	s_delay_alu instid0(VALU_DEP_4)
	v_fma_f32 v54, v60, 2.0, -v52
	v_fma_f32 v60, v62, 2.0, -v56
	;; [unrolled: 1-line block ×5, first 2 shown]
	v_sub_f32_e32 v70, v74, v90
	v_fma_f32 v69, v71, 2.0, -v65
	v_dual_sub_f32 v71, v75, v94 :: v_dual_sub_f32 v86, v77, v80
	v_sub_f32_e32 v82, v78, v95
	v_fma_f32 v72, v72, 2.0, -v66
	v_fma_f32 v73, v73, 2.0, -v67
	;; [unrolled: 1-line block ×8, first 2 shown]
	ds_store_2addr_b64 v159, v[54:55], v[52:53] offset1:34
	ds_store_2addr_b64 v160, v[60:61], v[56:57] offset1:34
	;; [unrolled: 1-line block ×8, first 2 shown]
	v_add_nc_u32_e32 v56, 0x800, v141
	v_add_nc_u32_e32 v57, 0x1000, v141
	;; [unrolled: 1-line block ×5, first 2 shown]
	global_wb scope:SCOPE_SE
	s_wait_dscnt 0x0
	s_barrier_signal -1
	s_barrier_wait -1
	global_inv scope:SCOPE_SE
	ds_load_2addr_b64 v[52:55], v141 offset1:119
	ds_load_2addr_b64 v[76:79], v56 offset0:16 offset1:135
	ds_load_2addr_b64 v[72:75], v57 offset0:32 offset1:151
	;; [unrolled: 1-line block ×6, first 2 shown]
	s_and_saveexec_b32 s1, s0
	s_cbranch_execz .LBB0_19
; %bb.18:
	ds_load_b64 v[80:81], v141 offset:1904
	ds_load_b64 v[82:83], v141 offset:4080
	;; [unrolled: 1-line block ×7, first 2 shown]
.LBB0_19:
	s_wait_alu 0xfffe
	s_or_b32 exec_lo, exec_lo, s1
	s_wait_dscnt 0x5
	v_mul_f32_e32 v84, v33, v77
	v_mul_f32_e32 v33, v33, v76
	s_wait_dscnt 0x4
	v_mul_f32_e32 v85, v35, v73
	v_mul_f32_e32 v35, v35, v72
	global_wb scope:SCOPE_SE
	s_wait_dscnt 0x0
	v_fmac_f32_e32 v84, v32, v76
	v_fma_f32 v32, v32, v77, -v33
	v_fmac_f32_e32 v85, v34, v72
	v_fma_f32 v33, v34, v73, -v35
	v_mul_f32_e32 v34, v29, v69
	v_mul_f32_e32 v29, v29, v68
	;; [unrolled: 1-line block ×3, first 2 shown]
	v_dual_mul_f32 v31, v31, v60 :: v_dual_mul_f32 v72, v21, v57
	s_delay_alu instid0(VALU_DEP_4) | instskip(NEXT) | instid1(VALU_DEP_4)
	v_fmac_f32_e32 v34, v28, v68
	v_fma_f32 v28, v28, v69, -v29
	s_delay_alu instid0(VALU_DEP_4) | instskip(NEXT) | instid1(VALU_DEP_4)
	v_dual_fmac_f32 v35, v30, v60 :: v_dual_mul_f32 v60, v19, v63
	v_fma_f32 v29, v30, v61, -v31
	v_dual_mul_f32 v21, v21, v56 :: v_dual_mul_f32 v30, v23, v65
	v_mul_f32_e32 v23, v23, v64
	v_dual_fmac_f32 v72, v20, v56 :: v_dual_mul_f32 v31, v25, v79
	s_delay_alu instid0(VALU_DEP_3)
	v_dual_mul_f32 v25, v25, v78 :: v_dual_fmac_f32 v30, v22, v64
	v_fmac_f32_e32 v60, v18, v62
	v_fma_f32 v20, v20, v57, -v21
	v_fma_f32 v21, v22, v65, -v23
	v_mul_f32_e32 v57, v27, v75
	v_dual_mul_f32 v22, v27, v74 :: v_dual_mul_f32 v27, v17, v71
	v_mul_f32_e32 v17, v17, v70
	v_dual_fmac_f32 v31, v24, v78 :: v_dual_mul_f32 v64, v15, v67
	v_fma_f32 v56, v24, v79, -v25
	s_delay_alu instid0(VALU_DEP_4) | instskip(NEXT) | instid1(VALU_DEP_4)
	v_fmac_f32_e32 v27, v16, v70
	v_fma_f32 v61, v16, v71, -v17
	v_mul_f32_e32 v16, v19, v62
	v_mul_f32_e32 v62, v13, v59
	v_dual_fmac_f32 v64, v14, v66 :: v_dual_add_f32 v17, v33, v20
	v_sub_f32_e32 v19, v33, v20
	s_delay_alu instid0(VALU_DEP_4) | instskip(NEXT) | instid1(VALU_DEP_4)
	v_fma_f32 v63, v18, v63, -v16
	v_fmac_f32_e32 v62, v12, v58
	v_dual_fmac_f32 v57, v26, v74 :: v_dual_add_f32 v16, v85, v72
	v_mul_f32_e32 v13, v13, v58
	v_fma_f32 v26, v26, v75, -v22
	v_sub_f32_e32 v18, v85, v72
	v_add_f32_e32 v20, v34, v35
	v_sub_f32_e32 v22, v35, v34
	v_fma_f32 v58, v12, v59, -v13
	v_add_f32_e32 v12, v84, v30
	v_mul_f32_e32 v15, v15, v66
	v_add_f32_e32 v13, v32, v21
	s_barrier_signal -1
	s_barrier_wait -1
	v_add_f32_e32 v24, v16, v12
	v_fma_f32 v59, v14, v67, -v15
	v_sub_f32_e32 v14, v84, v30
	v_sub_f32_e32 v15, v32, v21
	v_add_f32_e32 v21, v28, v29
	v_sub_f32_e32 v23, v29, v28
	v_dual_add_f32 v25, v17, v13 :: v_dual_sub_f32 v30, v12, v20
	v_dual_sub_f32 v28, v16, v12 :: v_dual_sub_f32 v29, v17, v13
	v_sub_f32_e32 v16, v20, v16
	v_add_f32_e32 v12, v22, v18
	v_dual_sub_f32 v33, v22, v18 :: v_dual_add_f32 v20, v20, v24
	v_sub_f32_e32 v22, v14, v22
	v_dual_sub_f32 v32, v13, v21 :: v_dual_add_f32 v13, v23, v19
	v_dual_sub_f32 v17, v21, v17 :: v_dual_sub_f32 v34, v23, v19
	v_add_f32_e32 v21, v21, v25
	v_dual_sub_f32 v23, v15, v23 :: v_dual_sub_f32 v18, v18, v14
	v_dual_sub_f32 v19, v19, v15 :: v_dual_add_f32 v14, v12, v14
	v_dual_add_f32 v12, v52, v20 :: v_dual_add_f32 v15, v13, v15
	s_delay_alu instid0(VALU_DEP_4) | instskip(SKIP_3) | instid1(VALU_DEP_4)
	v_dual_mul_f32 v24, 0x3f4a47b2, v30 :: v_dual_add_f32 v13, v53, v21
	v_mul_f32_e32 v30, 0x3d64c772, v16
	v_dual_mul_f32 v33, 0x3f08b237, v33 :: v_dual_mul_f32 v34, 0x3f08b237, v34
	v_dual_mul_f32 v35, 0xbf5ff5aa, v18 :: v_dual_mul_f32 v52, 0xbf5ff5aa, v19
	v_dual_fmamk_f32 v20, v20, 0xbf955555, v12 :: v_dual_fmamk_f32 v21, v21, 0xbf955555, v13
	v_mul_f32_e32 v25, 0x3f4a47b2, v32
	v_mul_f32_e32 v32, 0x3d64c772, v17
	v_fma_f32 v30, 0x3f3bfb3b, v28, -v30
	v_fma_f32 v35, 0x3eae86e6, v22, -v35
	global_inv scope:SCOPE_SE
	v_dual_fmamk_f32 v17, v17, 0x3d64c772, v25 :: v_dual_fmamk_f32 v16, v16, 0x3d64c772, v24
	v_fma_f32 v32, 0x3f3bfb3b, v29, -v32
	v_fma_f32 v24, 0xbf3bfb3b, v28, -v24
	;; [unrolled: 1-line block ×3, first 2 shown]
	s_delay_alu instid0(VALU_DEP_4)
	v_dual_add_f32 v53, v17, v21 :: v_dual_fmamk_f32 v28, v22, 0xbeae86e6, v33
	v_fmamk_f32 v29, v23, 0xbeae86e6, v34
	v_fma_f32 v33, 0xbf5ff5aa, v18, -v33
	v_fma_f32 v34, 0xbf5ff5aa, v19, -v34
	;; [unrolled: 1-line block ×3, first 2 shown]
	v_dual_add_f32 v52, v16, v20 :: v_dual_add_f32 v25, v25, v21
	v_dual_add_f32 v23, v30, v20 :: v_dual_fmac_f32 v28, 0xbee1c552, v14
	v_add_f32_e32 v30, v32, v21
	v_dual_add_f32 v24, v24, v20 :: v_dual_fmac_f32 v29, 0xbee1c552, v15
	v_dual_fmac_f32 v33, 0xbee1c552, v14 :: v_dual_fmac_f32 v22, 0xbee1c552, v15
	v_dual_fmac_f32 v35, 0xbee1c552, v14 :: v_dual_fmac_f32 v34, 0xbee1c552, v15
	s_delay_alu instid0(VALU_DEP_2) | instskip(SKIP_1) | instid1(VALU_DEP_3)
	v_dual_add_f32 v14, v29, v52 :: v_dual_sub_f32 v21, v30, v33
	v_sub_f32_e32 v15, v53, v28
	v_dual_add_f32 v16, v22, v24 :: v_dual_sub_f32 v17, v25, v35
	s_delay_alu instid0(VALU_DEP_4)
	v_sub_f32_e32 v18, v23, v34
	v_dual_add_f32 v19, v33, v30 :: v_dual_add_f32 v20, v34, v23
	v_dual_sub_f32 v22, v24, v22 :: v_dual_add_f32 v23, v35, v25
	v_dual_sub_f32 v24, v52, v29 :: v_dual_add_f32 v33, v26, v58
	v_dual_add_f32 v25, v28, v53 :: v_dual_add_f32 v28, v31, v64
	v_dual_add_f32 v29, v56, v59 :: v_dual_sub_f32 v30, v31, v64
	v_dual_sub_f32 v31, v56, v59 :: v_dual_add_f32 v32, v57, v62
	v_dual_sub_f32 v34, v57, v62 :: v_dual_add_f32 v35, v27, v60
	v_dual_sub_f32 v26, v26, v58 :: v_dual_sub_f32 v27, v60, v27
	v_dual_add_f32 v52, v61, v63 :: v_dual_sub_f32 v53, v63, v61
	s_delay_alu instid0(VALU_DEP_4) | instskip(SKIP_1) | instid1(VALU_DEP_3)
	v_dual_add_f32 v56, v32, v28 :: v_dual_add_f32 v57, v33, v29
	v_dual_sub_f32 v58, v32, v28 :: v_dual_sub_f32 v59, v33, v29
	v_dual_sub_f32 v28, v28, v35 :: v_dual_sub_f32 v29, v29, v52
	v_dual_sub_f32 v32, v35, v32 :: v_dual_sub_f32 v33, v52, v33
	v_dual_add_f32 v61, v53, v26 :: v_dual_sub_f32 v64, v30, v27
	v_add_f32_e32 v60, v27, v34
	s_delay_alu instid0(VALU_DEP_4) | instskip(SKIP_4) | instid1(VALU_DEP_2)
	v_dual_sub_f32 v62, v27, v34 :: v_dual_mul_f32 v29, 0x3f4a47b2, v29
	v_dual_sub_f32 v63, v53, v26 :: v_dual_add_f32 v52, v52, v57
	v_dual_sub_f32 v53, v31, v53 :: v_dual_sub_f32 v34, v34, v30
	v_dual_add_f32 v35, v35, v56 :: v_dual_sub_f32 v56, v26, v31
	v_dual_add_f32 v31, v61, v31 :: v_dual_add_f32 v30, v60, v30
	v_dual_add_f32 v27, v55, v52 :: v_dual_add_f32 v26, v54, v35
	v_mul_f32_e32 v55, 0x3d64c772, v33
	v_mul_f32_e32 v28, 0x3f4a47b2, v28
	v_dual_mul_f32 v54, 0x3d64c772, v32 :: v_dual_fmamk_f32 v33, v33, 0x3d64c772, v29
	v_dual_mul_f32 v57, 0x3f08b237, v62 :: v_dual_mul_f32 v60, 0x3f08b237, v63
	v_dual_mul_f32 v61, 0xbf5ff5aa, v34 :: v_dual_mul_f32 v62, 0xbf5ff5aa, v56
	v_dual_fmamk_f32 v35, v35, 0xbf955555, v26 :: v_dual_fmamk_f32 v52, v52, 0xbf955555, v27
	v_fmamk_f32 v32, v32, 0x3d64c772, v28
	v_fma_f32 v54, 0x3f3bfb3b, v58, -v54
	v_fma_f32 v55, 0x3f3bfb3b, v59, -v55
	;; [unrolled: 1-line block ×4, first 2 shown]
	v_dual_fmamk_f32 v58, v64, 0xbeae86e6, v57 :: v_dual_fmamk_f32 v59, v53, 0xbeae86e6, v60
	v_fma_f32 v57, 0xbf5ff5aa, v34, -v57
	v_fma_f32 v34, 0xbf5ff5aa, v56, -v60
	;; [unrolled: 1-line block ×4, first 2 shown]
	v_dual_add_f32 v54, v54, v35 :: v_dual_add_f32 v63, v29, v52
	v_dual_add_f32 v62, v28, v35 :: v_dual_fmac_f32 v57, 0xbee1c552, v30
	s_delay_alu instid0(VALU_DEP_3) | instskip(SKIP_3) | instid1(VALU_DEP_4)
	v_dual_fmac_f32 v53, 0xbee1c552, v31 :: v_dual_fmac_f32 v56, 0xbee1c552, v30
	v_dual_fmac_f32 v34, 0xbee1c552, v31 :: v_dual_add_f32 v61, v33, v52
	v_dual_add_f32 v60, v32, v35 :: v_dual_add_f32 v55, v55, v52
	v_dual_fmac_f32 v58, 0xbee1c552, v30 :: v_dual_fmac_f32 v59, 0xbee1c552, v31
	v_dual_add_f32 v30, v53, v62 :: v_dual_sub_f32 v31, v63, v56
	s_delay_alu instid0(VALU_DEP_3)
	v_dual_sub_f32 v35, v55, v57 :: v_dual_sub_f32 v32, v54, v34
	v_dual_sub_f32 v52, v62, v53 :: v_dual_add_f32 v53, v56, v63
	v_add_nc_u32_e32 v56, 0x800, v255
	v_dual_add_f32 v28, v59, v60 :: v_dual_add_f32 v33, v57, v55
	v_sub_f32_e32 v29, v61, v58
	v_add_f32_e32 v34, v34, v54
	ds_store_2addr_b64 v255, v[12:13], v[14:15] offset1:68
	ds_store_2addr_b64 v255, v[16:17], v[18:19] offset0:136 offset1:204
	v_add_nc_u32_e32 v12, 0x800, v254
	v_dual_sub_f32 v54, v60, v59 :: v_dual_add_f32 v55, v58, v61
	ds_store_2addr_b64 v56, v[20:21], v[22:23] offset0:16 offset1:84
	ds_store_b64 v255, v[24:25] offset:3264
	ds_store_2addr_b64 v254, v[26:27], v[28:29] offset1:68
	ds_store_2addr_b64 v254, v[30:31], v[32:33] offset0:136 offset1:204
	ds_store_2addr_b64 v12, v[34:35], v[52:53] offset0:16 offset1:84
	ds_store_b64 v254, v[54:55] offset:3264
	s_and_saveexec_b32 s1, s0
	s_cbranch_execz .LBB0_21
; %bb.20:
	v_dual_mul_f32 v12, v5, v83 :: v_dual_mul_f32 v13, v3, v128
	v_dual_mul_f32 v14, v1, v126 :: v_dual_mul_f32 v17, v11, v132
	v_mul_f32_e32 v15, v7, v134
	s_delay_alu instid0(VALU_DEP_3) | instskip(NEXT) | instid1(VALU_DEP_3)
	v_dual_mul_f32 v16, v9, v130 :: v_dual_fmac_f32 v13, v2, v127
	v_fmac_f32_e32 v14, v0, v125
	s_delay_alu instid0(VALU_DEP_3) | instskip(NEXT) | instid1(VALU_DEP_3)
	v_dual_fmac_f32 v12, v4, v82 :: v_dual_fmac_f32 v15, v6, v133
	v_dual_fmac_f32 v16, v8, v129 :: v_dual_fmac_f32 v17, v10, v131
	s_delay_alu instid0(VALU_DEP_3) | instskip(SKIP_1) | instid1(VALU_DEP_3)
	v_dual_sub_f32 v18, v13, v14 :: v_dual_mul_f32 v7, v7, v133
	v_mul_f32_e32 v11, v11, v131
	v_dual_sub_f32 v19, v15, v16 :: v_dual_sub_f32 v20, v12, v17
	v_add_f32_e32 v15, v16, v15
	s_delay_alu instid0(VALU_DEP_4) | instskip(NEXT) | instid1(VALU_DEP_4)
	v_fma_f32 v6, v6, v134, -v7
	v_fma_f32 v10, v10, v132, -v11
	s_delay_alu instid0(VALU_DEP_4) | instskip(SKIP_3) | instid1(VALU_DEP_4)
	v_add_f32_e32 v7, v18, v19
	v_mul_f32_e32 v5, v5, v82
	v_mul_f32_e32 v1, v1, v125
	v_add_f32_e32 v12, v17, v12
	v_add_f32_e32 v7, v7, v20
	v_sub_f32_e32 v11, v20, v18
	v_mul_f32_e32 v9, v9, v129
	v_fma_f32 v4, v4, v83, -v5
	v_fma_f32 v0, v0, v126, -v1
	s_delay_alu instid0(VALU_DEP_3) | instskip(NEXT) | instid1(VALU_DEP_3)
	v_fma_f32 v5, v8, v130, -v9
	v_add_f32_e32 v8, v10, v4
	v_sub_f32_e32 v4, v4, v10
	s_delay_alu instid0(VALU_DEP_3) | instskip(SKIP_1) | instid1(VALU_DEP_1)
	v_add_f32_e32 v9, v5, v6
	v_mul_f32_e32 v3, v3, v127
	v_fma_f32 v2, v2, v128, -v3
	s_delay_alu instid0(VALU_DEP_3) | instskip(NEXT) | instid1(VALU_DEP_2)
	v_add_f32_e32 v3, v9, v8
	v_dual_add_f32 v1, v0, v2 :: v_dual_sub_f32 v2, v2, v0
	v_sub_f32_e32 v21, v18, v19
	v_sub_f32_e32 v19, v19, v20
	;; [unrolled: 1-line block ×3, first 2 shown]
	s_delay_alu instid0(VALU_DEP_4) | instskip(SKIP_4) | instid1(VALU_DEP_3)
	v_sub_f32_e32 v22, v8, v1
	v_sub_f32_e32 v16, v1, v9
	v_mul_f32_e32 v21, 0x3f08b237, v21
	v_mul_f32_e32 v26, 0xbf5ff5aa, v19
	v_dual_add_f32 v3, v1, v3 :: v_dual_sub_f32 v10, v2, v5
	v_dual_sub_f32 v25, v4, v2 :: v_dual_fmamk_f32 v18, v11, 0xbeae86e6, v21
	s_delay_alu instid0(VALU_DEP_2) | instskip(NEXT) | instid1(VALU_DEP_3)
	v_dual_add_f32 v2, v2, v5 :: v_dual_add_f32 v1, v81, v3
	v_mul_f32_e32 v10, 0x3f08b237, v10
	s_delay_alu instid0(VALU_DEP_2) | instskip(NEXT) | instid1(VALU_DEP_3)
	v_add_f32_e32 v2, v2, v4
	v_dual_fmamk_f32 v24, v3, 0xbf955555, v1 :: v_dual_add_f32 v13, v14, v13
	v_add_f32_e32 v14, v15, v12
	s_delay_alu instid0(VALU_DEP_4) | instskip(SKIP_1) | instid1(VALU_DEP_3)
	v_fmamk_f32 v20, v25, 0xbeae86e6, v10
	v_sub_f32_e32 v8, v9, v8
	v_add_f32_e32 v3, v13, v14
	v_mul_f32_e32 v17, 0x3f4a47b2, v22
	v_mul_f32_e32 v22, 0x3d64c772, v16
	v_fmac_f32_e32 v20, 0xbee1c552, v2
	s_delay_alu instid0(VALU_DEP_4) | instskip(NEXT) | instid1(VALU_DEP_4)
	v_add_f32_e32 v0, v80, v3
	v_fmamk_f32 v16, v16, 0x3d64c772, v17
	s_delay_alu instid0(VALU_DEP_1) | instskip(SKIP_2) | instid1(VALU_DEP_2)
	v_add_f32_e32 v14, v16, v24
	v_sub_f32_e32 v23, v12, v13
	v_sub_f32_e32 v13, v13, v15
	v_mul_f32_e32 v6, 0x3f4a47b2, v23
	v_fmamk_f32 v23, v3, 0xbf955555, v0
	v_sub_f32_e32 v5, v5, v4
	v_fma_f32 v4, 0xbf3bfb3b, v8, -v17
	v_fmac_f32_e32 v18, 0xbee1c552, v7
	v_dual_fmamk_f32 v16, v13, 0x3d64c772, v6 :: v_dual_sub_f32 v9, v15, v12
	v_fma_f32 v11, 0x3eae86e6, v11, -v26
	s_delay_alu instid0(VALU_DEP_4) | instskip(SKIP_3) | instid1(VALU_DEP_2)
	v_add_f32_e32 v15, v4, v24
	v_fma_f32 v4, 0x3f3bfb3b, v8, -v22
	v_fma_f32 v8, 0xbf5ff5aa, v19, -v21
	v_dual_add_f32 v16, v16, v23 :: v_dual_lshlrev_b32 v19, 3, v253
	v_dual_fmac_f32 v8, 0xbee1c552, v7 :: v_dual_add_f32 v3, v18, v14
	v_mul_f32_e32 v12, 0xbf5ff5aa, v5
	v_fma_f32 v17, 0xbf5ff5aa, v5, -v10
	s_delay_alu instid0(VALU_DEP_2) | instskip(NEXT) | instid1(VALU_DEP_2)
	v_fma_f32 v12, 0x3eae86e6, v25, -v12
	v_fmac_f32_e32 v17, 0xbee1c552, v2
	s_delay_alu instid0(VALU_DEP_2) | instskip(SKIP_1) | instid1(VALU_DEP_1)
	v_fmac_f32_e32 v12, 0xbee1c552, v2
	v_fma_f32 v6, 0xbf3bfb3b, v9, -v6
	v_dual_mul_f32 v13, 0x3d64c772, v13 :: v_dual_add_f32 v6, v6, v23
	s_delay_alu instid0(VALU_DEP_1) | instskip(SKIP_2) | instid1(VALU_DEP_4)
	v_fma_f32 v5, 0x3f3bfb3b, v9, -v13
	v_fmac_f32_e32 v11, 0xbee1c552, v7
	v_sub_f32_e32 v13, v14, v18
	v_add_f32_e32 v10, v12, v6
	s_delay_alu instid0(VALU_DEP_4) | instskip(NEXT) | instid1(VALU_DEP_4)
	v_dual_add_f32 v2, v5, v23 :: v_dual_add_f32 v9, v4, v24
	v_dual_sub_f32 v4, v6, v12 :: v_dual_add_f32 v5, v11, v15
	v_add_f32_e32 v12, v20, v16
	s_delay_alu instid0(VALU_DEP_3) | instskip(NEXT) | instid1(VALU_DEP_4)
	v_add_f32_e32 v6, v17, v2
	v_sub_f32_e32 v7, v9, v8
	v_add_f32_e32 v9, v8, v9
	v_sub_f32_e32 v8, v2, v17
	v_sub_f32_e32 v2, v16, v20
	v_add_nc_u32_e32 v14, 0x2800, v19
	v_sub_f32_e32 v11, v15, v11
	v_add_nc_u32_e32 v15, 0x3000, v19
	ds_store_2addr_b64 v14, v[0:1], v[12:13] offset0:148 offset1:216
	ds_store_2addr_b64 v15, v[10:11], v[8:9] offset0:28 offset1:96
	;; [unrolled: 1-line block ×3, first 2 shown]
	ds_store_b64 v19, v[2:3] offset:14688
.LBB0_21:
	s_wait_alu 0xfffe
	s_or_b32 exec_lo, exec_lo, s1
	v_add_nc_u32_e32 v32, 0xc00, v141
	v_add_nc_u32_e32 v33, 0x1c00, v141
	;; [unrolled: 1-line block ×3, first 2 shown]
	global_wb scope:SCOPE_SE
	s_wait_dscnt 0x0
	s_barrier_signal -1
	s_barrier_wait -1
	global_inv scope:SCOPE_SE
	ds_load_2addr_b64 v[0:3], v32 offset0:92 offset1:211
	ds_load_2addr_b64 v[4:7], v33 offset0:56 offset1:175
	;; [unrolled: 1-line block ×3, first 2 shown]
	v_add_nc_u32_e32 v52, 0x1400, v141
	v_add_nc_u32_e32 v53, 0x2400, v141
	s_wait_dscnt 0x2
	v_mul_f32_e32 v59, v49, v3
	v_mul_f32_e32 v55, v45, v1
	s_wait_dscnt 0x0
	v_mul_f32_e32 v57, v120, v9
	v_mul_f32_e32 v56, v47, v5
	;; [unrolled: 1-line block ×3, first 2 shown]
	v_fmac_f32_e32 v59, v48, v2
	v_add_nc_u32_e32 v35, 0x400, v141
	v_fmac_f32_e32 v57, v119, v8
	v_mul_f32_e32 v8, v51, v6
	v_dual_fmac_f32 v55, v44, v0 :: v_dual_add_nc_u32 v54, 0x3000, v141
	v_mul_f32_e32 v47, v47, v4
	v_fmac_f32_e32 v56, v46, v4
	v_mul_f32_e32 v4, v49, v2
	ds_load_2addr_b64 v[12:15], v141 offset1:119
	ds_load_2addr_b64 v[16:19], v35 offset0:110 offset1:229
	ds_load_2addr_b64 v[20:23], v52 offset0:74 offset1:193
	;; [unrolled: 1-line block ×4, first 2 shown]
	v_dual_mul_f32 v45, v45, v0 :: v_dual_mul_f32 v2, v122, v10
	v_fma_f32 v9, v119, v9, -v58
	s_delay_alu instid0(VALU_DEP_2) | instskip(SKIP_3) | instid1(VALU_DEP_1)
	v_fma_f32 v0, v44, v1, -v45
	v_fma_f32 v1, v46, v5, -v47
	;; [unrolled: 1-line block ×3, first 2 shown]
	v_mul_f32_e32 v4, v122, v11
	v_dual_mul_f32 v5, v51, v7 :: v_dual_fmac_f32 v4, v121, v10
	s_delay_alu instid0(VALU_DEP_1)
	v_fmac_f32_e32 v5, v50, v6
	v_fma_f32 v6, v50, v7, -v8
	v_fma_f32 v7, v121, v11, -v2
	s_wait_dscnt 0x2
	v_mul_f32_e32 v3, v41, v20
	s_wait_dscnt 0x1
	v_mul_f32_e32 v2, v43, v24
	;; [unrolled: 2-line block ×3, first 2 shown]
	v_mul_f32_e32 v45, v41, v21
	v_dual_mul_f32 v41, v43, v25 :: v_dual_mul_f32 v8, v37, v22
	v_fma_f32 v11, v40, v21, -v3
	s_delay_alu instid0(VALU_DEP_4) | instskip(NEXT) | instid1(VALU_DEP_4)
	v_dual_mul_f32 v21, v37, v23 :: v_dual_fmac_f32 v10, v123, v28
	v_fmac_f32_e32 v45, v40, v20
	s_delay_alu instid0(VALU_DEP_4)
	v_fmac_f32_e32 v41, v42, v24
	v_fma_f32 v20, v42, v25, -v2
	v_fma_f32 v23, v36, v23, -v8
	v_sub_f32_e32 v8, v12, v56
	v_dual_fmac_f32 v21, v36, v22 :: v_dual_mul_f32 v22, v39, v27
	v_mul_f32_e32 v3, v124, v28
	v_sub_f32_e32 v25, v13, v1
	v_sub_f32_e32 v28, v55, v57
	v_fma_f32 v2, v12, 2.0, -v8
	v_fmac_f32_e32 v22, v38, v26
	v_fma_f32 v24, v123, v29, -v3
	v_fma_f32 v3, v13, 2.0, -v25
	v_fma_f32 v1, v55, 2.0, -v28
	v_dual_mul_f32 v13, v39, v26 :: v_dual_mul_f32 v26, v118, v31
	v_dual_sub_f32 v9, v0, v9 :: v_dual_sub_f32 v36, v17, v20
	s_delay_alu instid0(VALU_DEP_2) | instskip(NEXT) | instid1(VALU_DEP_2)
	v_fmac_f32_e32 v26, v117, v30
	v_fma_f32 v12, v0, 2.0, -v9
	v_mul_f32_e32 v29, v118, v30
	v_sub_f32_e32 v0, v2, v1
	v_sub_f32_e32 v30, v14, v5
	v_fma_f32 v27, v38, v27, -v13
	v_dual_sub_f32 v1, v3, v12 :: v_dual_sub_f32 v12, v44, v7
	v_sub_f32_e32 v5, v25, v28
	s_delay_alu instid0(VALU_DEP_4) | instskip(SKIP_4) | instid1(VALU_DEP_4)
	v_fma_f32 v14, v14, 2.0, -v30
	v_dual_sub_f32 v13, v59, v4 :: v_dual_add_f32 v4, v8, v9
	v_fma_f32 v29, v117, v31, -v29
	v_sub_f32_e32 v31, v15, v6
	v_fma_f32 v9, v44, 2.0, -v12
	v_fma_f32 v7, v59, 2.0, -v13
	;; [unrolled: 1-line block ×3, first 2 shown]
	v_sub_f32_e32 v24, v11, v24
	v_fma_f32 v15, v15, 2.0, -v31
	v_fma_f32 v6, v8, 2.0, -v4
	v_sub_f32_e32 v8, v14, v7
	v_fma_f32 v7, v25, 2.0, -v5
	v_dual_sub_f32 v25, v16, v41 :: v_dual_sub_f32 v28, v45, v10
	v_dual_sub_f32 v9, v15, v9 :: v_dual_add_f32 v12, v30, v12
	v_sub_f32_e32 v13, v31, v13
	v_fma_f32 v38, v11, 2.0, -v24
	s_delay_alu instid0(VALU_DEP_4) | instskip(NEXT) | instid1(VALU_DEP_4)
	v_fma_f32 v20, v16, 2.0, -v25
	v_fma_f32 v11, v15, 2.0, -v9
	;; [unrolled: 1-line block ×3, first 2 shown]
	v_sub_f32_e32 v30, v18, v22
	v_fma_f32 v17, v31, 2.0, -v13
	v_sub_f32_e32 v15, v37, v38
	v_dual_sub_f32 v31, v19, v27 :: v_dual_add_f32 v22, v25, v24
	v_dual_sub_f32 v27, v21, v26 :: v_dual_sub_f32 v26, v23, v29
	v_fma_f32 v10, v14, 2.0, -v8
	v_fma_f32 v14, v45, 2.0, -v28
	;; [unrolled: 1-line block ×6, first 2 shown]
	v_sub_f32_e32 v14, v20, v14
	v_sub_f32_e32 v23, v36, v28
	v_fma_f32 v18, v25, 2.0, -v22
	v_sub_f32_e32 v24, v29, v19
	v_sub_f32_e32 v25, v38, v39
	v_fma_f32 v2, v2, 2.0, -v0
	v_fma_f32 v3, v3, 2.0, -v1
	v_dual_add_f32 v26, v30, v26 :: v_dual_sub_f32 v27, v31, v27
	v_fma_f32 v20, v20, 2.0, -v14
	v_fma_f32 v21, v37, 2.0, -v15
	;; [unrolled: 1-line block ×7, first 2 shown]
	ds_store_2addr_b64 v141, v[2:3], v[10:11] offset1:119
	ds_store_2addr_b64 v32, v[6:7], v[16:17] offset0:92 offset1:211
	ds_store_2addr_b64 v33, v[0:1], v[8:9] offset0:56 offset1:175
	ds_store_2addr_b64 v34, v[4:5], v[12:13] offset0:20 offset1:139
	ds_store_2addr_b64 v35, v[20:21], v[28:29] offset0:110 offset1:229
	ds_store_2addr_b64 v52, v[18:19], v[30:31] offset0:74 offset1:193
	ds_store_2addr_b64 v53, v[14:15], v[24:25] offset0:38 offset1:157
	ds_store_2addr_b64 v54, v[22:23], v[26:27] offset0:130 offset1:249
	global_wb scope:SCOPE_SE
	s_wait_dscnt 0x0
	s_barrier_signal -1
	s_barrier_wait -1
	global_inv scope:SCOPE_SE
	s_and_b32 exec_lo, exec_lo, vcc_lo
	s_cbranch_execz .LBB0_23
; %bb.22:
	global_load_b64 v[0:1], v138, s[8:9]
	ds_load_b64 v[2:3], v141
	v_mad_co_u64_u32 v[6:7], null, s4, v250, 0
	s_mov_b32 s0, 0x1135c811
	s_mov_b32 s1, 0x3f4135c8
	s_mul_u64 s[2:3], s[4:5], 0x380
	s_wait_loadcnt_dscnt 0x0
	v_mul_f32_e32 v4, v3, v1
	v_mul_f32_e32 v1, v2, v1
	s_delay_alu instid0(VALU_DEP_2) | instskip(NEXT) | instid1(VALU_DEP_2)
	v_fmac_f32_e32 v4, v2, v0
	v_fma_f32 v2, v0, v3, -v1
	s_delay_alu instid0(VALU_DEP_2) | instskip(NEXT) | instid1(VALU_DEP_2)
	v_cvt_f64_f32_e32 v[0:1], v4
	v_cvt_f64_f32_e32 v[2:3], v2
	v_mad_co_u64_u32 v[4:5], null, s6, v249, 0
	s_wait_alu 0xfffe
	s_delay_alu instid0(VALU_DEP_3) | instskip(NEXT) | instid1(VALU_DEP_3)
	v_mul_f64_e32 v[0:1], s[0:1], v[0:1]
	v_mul_f64_e32 v[2:3], s[0:1], v[2:3]
	s_delay_alu instid0(VALU_DEP_2) | instskip(NEXT) | instid1(VALU_DEP_2)
	v_cvt_f32_f64_e32 v0, v[0:1]
	v_cvt_f32_f64_e32 v1, v[2:3]
	v_dual_mov_b32 v3, v7 :: v_dual_mov_b32 v2, v5
	s_delay_alu instid0(VALU_DEP_1) | instskip(SKIP_1) | instid1(VALU_DEP_2)
	v_mad_co_u64_u32 v[7:8], null, s7, v249, v[2:3]
	v_mad_co_u64_u32 v[2:3], null, s5, v250, v[3:4]
	v_mov_b32_e32 v5, v7
	s_delay_alu instid0(VALU_DEP_2) | instskip(NEXT) | instid1(VALU_DEP_2)
	v_mov_b32_e32 v7, v2
	v_lshlrev_b64_e32 v[2:3], 3, v[4:5]
	s_delay_alu instid0(VALU_DEP_2) | instskip(NEXT) | instid1(VALU_DEP_2)
	v_lshlrev_b64_e32 v[4:5], 3, v[6:7]
	v_add_co_u32 v8, vcc_lo, s12, v2
	s_delay_alu instid0(VALU_DEP_3) | instskip(NEXT) | instid1(VALU_DEP_2)
	v_add_co_ci_u32_e32 v9, vcc_lo, s13, v3, vcc_lo
	v_add_co_u32 v4, vcc_lo, v8, v4
	s_wait_alu 0xfffd
	s_delay_alu instid0(VALU_DEP_2)
	v_add_co_ci_u32_e32 v5, vcc_lo, v9, v5, vcc_lo
	global_store_b64 v[4:5], v[0:1], off
	global_load_b64 v[6:7], v138, s[8:9] offset:896
	ds_load_2addr_b64 v[0:3], v138 offset0:112 offset1:224
	v_add_co_u32 v4, vcc_lo, v4, s2
	s_wait_alu 0xfffd
	v_add_co_ci_u32_e32 v5, vcc_lo, s3, v5, vcc_lo
	s_wait_loadcnt_dscnt 0x0
	v_mul_f32_e32 v10, v1, v7
	v_mul_f32_e32 v7, v0, v7
	s_delay_alu instid0(VALU_DEP_2) | instskip(NEXT) | instid1(VALU_DEP_2)
	v_fmac_f32_e32 v10, v0, v6
	v_fma_f32 v6, v6, v1, -v7
	s_delay_alu instid0(VALU_DEP_2) | instskip(NEXT) | instid1(VALU_DEP_2)
	v_cvt_f64_f32_e32 v[0:1], v10
	v_cvt_f64_f32_e32 v[6:7], v6
	s_delay_alu instid0(VALU_DEP_2) | instskip(NEXT) | instid1(VALU_DEP_2)
	v_mul_f64_e32 v[0:1], s[0:1], v[0:1]
	v_mul_f64_e32 v[6:7], s[0:1], v[6:7]
	s_delay_alu instid0(VALU_DEP_2) | instskip(NEXT) | instid1(VALU_DEP_2)
	v_cvt_f32_f64_e32 v0, v[0:1]
	v_cvt_f32_f64_e32 v1, v[6:7]
	global_store_b64 v[4:5], v[0:1], off
	global_load_b64 v[0:1], v138, s[8:9] offset:1792
	v_add_co_u32 v4, vcc_lo, v4, s2
	s_wait_alu 0xfffd
	v_add_co_ci_u32_e32 v5, vcc_lo, s3, v5, vcc_lo
	s_wait_loadcnt 0x0
	v_mul_f32_e32 v6, v3, v1
	v_mul_f32_e32 v1, v2, v1
	s_delay_alu instid0(VALU_DEP_2) | instskip(NEXT) | instid1(VALU_DEP_2)
	v_fmac_f32_e32 v6, v2, v0
	v_fma_f32 v2, v0, v3, -v1
	s_delay_alu instid0(VALU_DEP_2) | instskip(NEXT) | instid1(VALU_DEP_2)
	v_cvt_f64_f32_e32 v[0:1], v6
	v_cvt_f64_f32_e32 v[2:3], v2
	s_delay_alu instid0(VALU_DEP_2) | instskip(NEXT) | instid1(VALU_DEP_2)
	v_mul_f64_e32 v[0:1], s[0:1], v[0:1]
	v_mul_f64_e32 v[2:3], s[0:1], v[2:3]
	s_delay_alu instid0(VALU_DEP_2) | instskip(NEXT) | instid1(VALU_DEP_2)
	v_cvt_f32_f64_e32 v0, v[0:1]
	v_cvt_f32_f64_e32 v1, v[2:3]
	global_store_b64 v[4:5], v[0:1], off
	global_load_b64 v[6:7], v138, s[8:9] offset:2688
	v_add_nc_u32_e32 v0, 0x800, v138
	v_add_co_u32 v4, vcc_lo, v4, s2
	s_wait_alu 0xfffd
	v_add_co_ci_u32_e32 v5, vcc_lo, s3, v5, vcc_lo
	ds_load_2addr_b64 v[0:3], v0 offset0:80 offset1:192
	s_wait_loadcnt_dscnt 0x0
	v_mul_f32_e32 v10, v1, v7
	v_mul_f32_e32 v7, v0, v7
	s_delay_alu instid0(VALU_DEP_2) | instskip(NEXT) | instid1(VALU_DEP_2)
	v_fmac_f32_e32 v10, v0, v6
	v_fma_f32 v6, v6, v1, -v7
	s_delay_alu instid0(VALU_DEP_2) | instskip(NEXT) | instid1(VALU_DEP_2)
	v_cvt_f64_f32_e32 v[0:1], v10
	v_cvt_f64_f32_e32 v[6:7], v6
	s_delay_alu instid0(VALU_DEP_2) | instskip(NEXT) | instid1(VALU_DEP_2)
	v_mul_f64_e32 v[0:1], s[0:1], v[0:1]
	v_mul_f64_e32 v[6:7], s[0:1], v[6:7]
	s_delay_alu instid0(VALU_DEP_2) | instskip(NEXT) | instid1(VALU_DEP_2)
	v_cvt_f32_f64_e32 v0, v[0:1]
	v_cvt_f32_f64_e32 v1, v[6:7]
	global_store_b64 v[4:5], v[0:1], off
	global_load_b64 v[0:1], v138, s[8:9] offset:3584
	v_add_co_u32 v4, vcc_lo, v4, s2
	s_wait_alu 0xfffd
	v_add_co_ci_u32_e32 v5, vcc_lo, s3, v5, vcc_lo
	s_wait_loadcnt 0x0
	v_mul_f32_e32 v6, v3, v1
	v_mul_f32_e32 v1, v2, v1
	s_delay_alu instid0(VALU_DEP_2) | instskip(NEXT) | instid1(VALU_DEP_2)
	v_fmac_f32_e32 v6, v2, v0
	v_fma_f32 v2, v0, v3, -v1
	s_delay_alu instid0(VALU_DEP_2) | instskip(NEXT) | instid1(VALU_DEP_2)
	v_cvt_f64_f32_e32 v[0:1], v6
	v_cvt_f64_f32_e32 v[2:3], v2
	s_delay_alu instid0(VALU_DEP_2) | instskip(NEXT) | instid1(VALU_DEP_2)
	v_mul_f64_e32 v[0:1], s[0:1], v[0:1]
	v_mul_f64_e32 v[2:3], s[0:1], v[2:3]
	s_delay_alu instid0(VALU_DEP_2) | instskip(NEXT) | instid1(VALU_DEP_2)
	v_cvt_f32_f64_e32 v0, v[0:1]
	v_cvt_f32_f64_e32 v1, v[2:3]
	global_store_b64 v[4:5], v[0:1], off
	global_load_b64 v[6:7], v138, s[8:9] offset:4480
	v_add_nc_u32_e32 v0, 0x1000, v138
	v_add_co_u32 v4, vcc_lo, v4, s2
	s_wait_alu 0xfffd
	v_add_co_ci_u32_e32 v5, vcc_lo, s3, v5, vcc_lo
	ds_load_2addr_b64 v[0:3], v0 offset0:48 offset1:160
	;; [unrolled: 42-line block ×3, first 2 shown]
	s_wait_loadcnt_dscnt 0x0
	v_mul_f32_e32 v10, v1, v7
	v_mul_f32_e32 v7, v0, v7
	s_delay_alu instid0(VALU_DEP_2) | instskip(NEXT) | instid1(VALU_DEP_2)
	v_fmac_f32_e32 v10, v0, v6
	v_fma_f32 v6, v6, v1, -v7
	s_delay_alu instid0(VALU_DEP_2) | instskip(NEXT) | instid1(VALU_DEP_2)
	v_cvt_f64_f32_e32 v[0:1], v10
	v_cvt_f64_f32_e32 v[6:7], v6
	s_delay_alu instid0(VALU_DEP_2) | instskip(NEXT) | instid1(VALU_DEP_2)
	v_mul_f64_e32 v[0:1], s[0:1], v[0:1]
	v_mul_f64_e32 v[6:7], s[0:1], v[6:7]
	s_delay_alu instid0(VALU_DEP_2) | instskip(NEXT) | instid1(VALU_DEP_2)
	v_cvt_f32_f64_e32 v0, v[0:1]
	v_cvt_f32_f64_e32 v1, v[6:7]
	global_store_b64 v[4:5], v[0:1], off
	global_load_b64 v[0:1], v138, s[8:9] offset:7168
	v_mad_co_u64_u32 v[4:5], null, 0x700, s4, v[4:5]
	s_wait_loadcnt 0x0
	v_mul_f32_e32 v6, v3, v1
	v_mul_f32_e32 v1, v2, v1
	s_delay_alu instid0(VALU_DEP_2) | instskip(NEXT) | instid1(VALU_DEP_2)
	v_fmac_f32_e32 v6, v2, v0
	v_fma_f32 v2, v0, v3, -v1
	s_delay_alu instid0(VALU_DEP_2) | instskip(NEXT) | instid1(VALU_DEP_2)
	v_cvt_f64_f32_e32 v[0:1], v6
	v_cvt_f64_f32_e32 v[2:3], v2
	v_mad_co_u64_u32 v[6:7], null, s4, v248, 0
	s_delay_alu instid0(VALU_DEP_3) | instskip(NEXT) | instid1(VALU_DEP_3)
	v_mul_f64_e32 v[0:1], s[0:1], v[0:1]
	v_mul_f64_e32 v[2:3], s[0:1], v[2:3]
	s_delay_alu instid0(VALU_DEP_2) | instskip(NEXT) | instid1(VALU_DEP_2)
	v_cvt_f32_f64_e32 v0, v[0:1]
	v_cvt_f32_f64_e32 v1, v[2:3]
	v_mov_b32_e32 v2, v7
	s_delay_alu instid0(VALU_DEP_1) | instskip(NEXT) | instid1(VALU_DEP_1)
	v_mad_co_u64_u32 v[2:3], null, s5, v248, v[2:3]
	v_mov_b32_e32 v7, v2
	s_delay_alu instid0(VALU_DEP_1) | instskip(NEXT) | instid1(VALU_DEP_1)
	v_lshlrev_b64_e32 v[2:3], 3, v[6:7]
	v_add_co_u32 v2, vcc_lo, v8, v2
	s_wait_alu 0xfffd
	s_delay_alu instid0(VALU_DEP_2)
	v_add_co_ci_u32_e32 v3, vcc_lo, v9, v3, vcc_lo
	global_store_b64 v[2:3], v[0:1], off
	global_load_b64 v[6:7], v138, s[8:9] offset:8064
	v_add_nc_u32_e32 v0, 0x1c00, v138
	ds_load_2addr_b64 v[0:3], v0 offset0:112 offset1:224
	s_wait_loadcnt_dscnt 0x0
	v_mul_f32_e32 v10, v1, v7
	v_mul_f32_e32 v7, v0, v7
	s_delay_alu instid0(VALU_DEP_2) | instskip(NEXT) | instid1(VALU_DEP_2)
	v_fmac_f32_e32 v10, v0, v6
	v_fma_f32 v6, v6, v1, -v7
	s_delay_alu instid0(VALU_DEP_2) | instskip(NEXT) | instid1(VALU_DEP_2)
	v_cvt_f64_f32_e32 v[0:1], v10
	v_cvt_f64_f32_e32 v[6:7], v6
	s_delay_alu instid0(VALU_DEP_2) | instskip(NEXT) | instid1(VALU_DEP_2)
	v_mul_f64_e32 v[0:1], s[0:1], v[0:1]
	v_mul_f64_e32 v[6:7], s[0:1], v[6:7]
	s_delay_alu instid0(VALU_DEP_2) | instskip(NEXT) | instid1(VALU_DEP_2)
	v_cvt_f32_f64_e32 v0, v[0:1]
	v_cvt_f32_f64_e32 v1, v[6:7]
	v_mad_co_u64_u32 v[5:6], null, 0x700, s5, v[5:6]
	global_store_b64 v[4:5], v[0:1], off
	global_load_b64 v[0:1], v138, s[8:9] offset:8960
	v_add_co_u32 v4, vcc_lo, v4, s2
	s_wait_alu 0xfffd
	v_add_co_ci_u32_e32 v5, vcc_lo, s3, v5, vcc_lo
	s_wait_loadcnt 0x0
	v_mul_f32_e32 v6, v3, v1
	v_mul_f32_e32 v1, v2, v1
	s_delay_alu instid0(VALU_DEP_2) | instskip(NEXT) | instid1(VALU_DEP_2)
	v_fmac_f32_e32 v6, v2, v0
	v_fma_f32 v2, v0, v3, -v1
	s_delay_alu instid0(VALU_DEP_2) | instskip(NEXT) | instid1(VALU_DEP_2)
	v_cvt_f64_f32_e32 v[0:1], v6
	v_cvt_f64_f32_e32 v[2:3], v2
	s_delay_alu instid0(VALU_DEP_2) | instskip(NEXT) | instid1(VALU_DEP_2)
	v_mul_f64_e32 v[0:1], s[0:1], v[0:1]
	v_mul_f64_e32 v[2:3], s[0:1], v[2:3]
	s_delay_alu instid0(VALU_DEP_2) | instskip(NEXT) | instid1(VALU_DEP_2)
	v_cvt_f32_f64_e32 v0, v[0:1]
	v_cvt_f32_f64_e32 v1, v[2:3]
	global_store_b64 v[4:5], v[0:1], off
	global_load_b64 v[6:7], v138, s[8:9] offset:9856
	v_add_nc_u32_e32 v0, 0x2400, v138
	v_add_co_u32 v4, vcc_lo, v4, s2
	s_wait_alu 0xfffd
	v_add_co_ci_u32_e32 v5, vcc_lo, s3, v5, vcc_lo
	ds_load_2addr_b64 v[0:3], v0 offset0:80 offset1:192
	s_wait_loadcnt_dscnt 0x0
	v_mul_f32_e32 v10, v1, v7
	v_mul_f32_e32 v7, v0, v7
	s_delay_alu instid0(VALU_DEP_2) | instskip(NEXT) | instid1(VALU_DEP_2)
	v_fmac_f32_e32 v10, v0, v6
	v_fma_f32 v6, v6, v1, -v7
	s_delay_alu instid0(VALU_DEP_2) | instskip(NEXT) | instid1(VALU_DEP_2)
	v_cvt_f64_f32_e32 v[0:1], v10
	v_cvt_f64_f32_e32 v[6:7], v6
	s_delay_alu instid0(VALU_DEP_2) | instskip(NEXT) | instid1(VALU_DEP_2)
	v_mul_f64_e32 v[0:1], s[0:1], v[0:1]
	v_mul_f64_e32 v[6:7], s[0:1], v[6:7]
	s_delay_alu instid0(VALU_DEP_2) | instskip(NEXT) | instid1(VALU_DEP_2)
	v_cvt_f32_f64_e32 v0, v[0:1]
	v_cvt_f32_f64_e32 v1, v[6:7]
	global_store_b64 v[4:5], v[0:1], off
	global_load_b64 v[0:1], v138, s[8:9] offset:10752
	v_add_co_u32 v4, vcc_lo, v4, s2
	s_wait_alu 0xfffd
	v_add_co_ci_u32_e32 v5, vcc_lo, s3, v5, vcc_lo
	s_wait_loadcnt 0x0
	v_mul_f32_e32 v6, v3, v1
	v_mul_f32_e32 v1, v2, v1
	s_delay_alu instid0(VALU_DEP_2) | instskip(NEXT) | instid1(VALU_DEP_2)
	v_fmac_f32_e32 v6, v2, v0
	v_fma_f32 v2, v0, v3, -v1
	s_delay_alu instid0(VALU_DEP_2) | instskip(NEXT) | instid1(VALU_DEP_2)
	v_cvt_f64_f32_e32 v[0:1], v6
	v_cvt_f64_f32_e32 v[2:3], v2
	s_delay_alu instid0(VALU_DEP_2) | instskip(NEXT) | instid1(VALU_DEP_2)
	v_mul_f64_e32 v[0:1], s[0:1], v[0:1]
	v_mul_f64_e32 v[2:3], s[0:1], v[2:3]
	s_delay_alu instid0(VALU_DEP_2) | instskip(NEXT) | instid1(VALU_DEP_2)
	v_cvt_f32_f64_e32 v0, v[0:1]
	v_cvt_f32_f64_e32 v1, v[2:3]
	global_store_b64 v[4:5], v[0:1], off
	global_load_b64 v[6:7], v138, s[8:9] offset:11648
	v_add_nc_u32_e32 v0, 0x2c00, v138
	v_add_co_u32 v4, vcc_lo, v4, s2
	s_wait_alu 0xfffd
	v_add_co_ci_u32_e32 v5, vcc_lo, s3, v5, vcc_lo
	ds_load_2addr_b64 v[0:3], v0 offset0:48 offset1:160
	s_wait_loadcnt_dscnt 0x0
	v_mul_f32_e32 v10, v1, v7
	v_mul_f32_e32 v7, v0, v7
	s_delay_alu instid0(VALU_DEP_2) | instskip(NEXT) | instid1(VALU_DEP_2)
	v_fmac_f32_e32 v10, v0, v6
	v_fma_f32 v6, v6, v1, -v7
	s_delay_alu instid0(VALU_DEP_2) | instskip(NEXT) | instid1(VALU_DEP_2)
	v_cvt_f64_f32_e32 v[0:1], v10
	v_cvt_f64_f32_e32 v[6:7], v6
	s_delay_alu instid0(VALU_DEP_2) | instskip(NEXT) | instid1(VALU_DEP_2)
	v_mul_f64_e32 v[0:1], s[0:1], v[0:1]
	v_mul_f64_e32 v[6:7], s[0:1], v[6:7]
	s_delay_alu instid0(VALU_DEP_2) | instskip(NEXT) | instid1(VALU_DEP_2)
	v_cvt_f32_f64_e32 v0, v[0:1]
	v_cvt_f32_f64_e32 v1, v[6:7]
	;; [unrolled: 42-line block ×3, first 2 shown]
	global_store_b64 v[4:5], v[0:1], off
	global_load_b64 v[0:1], v138, s[8:9] offset:14336
	s_wait_loadcnt 0x0
	v_mul_f32_e32 v4, v3, v1
	v_mul_f32_e32 v1, v2, v1
	s_delay_alu instid0(VALU_DEP_2) | instskip(NEXT) | instid1(VALU_DEP_2)
	v_fmac_f32_e32 v4, v2, v0
	v_fma_f32 v2, v0, v3, -v1
	s_delay_alu instid0(VALU_DEP_2) | instskip(NEXT) | instid1(VALU_DEP_2)
	v_cvt_f64_f32_e32 v[0:1], v4
	v_cvt_f64_f32_e32 v[2:3], v2
	v_mad_co_u64_u32 v[4:5], null, s4, v247, 0
	s_delay_alu instid0(VALU_DEP_3) | instskip(NEXT) | instid1(VALU_DEP_3)
	v_mul_f64_e32 v[0:1], s[0:1], v[0:1]
	v_mul_f64_e32 v[2:3], s[0:1], v[2:3]
	s_delay_alu instid0(VALU_DEP_2) | instskip(NEXT) | instid1(VALU_DEP_2)
	v_cvt_f32_f64_e32 v0, v[0:1]
	v_cvt_f32_f64_e32 v1, v[2:3]
	v_mov_b32_e32 v2, v5
	s_delay_alu instid0(VALU_DEP_1) | instskip(NEXT) | instid1(VALU_DEP_1)
	v_mad_co_u64_u32 v[2:3], null, s5, v247, v[2:3]
	v_mov_b32_e32 v5, v2
	s_delay_alu instid0(VALU_DEP_1) | instskip(NEXT) | instid1(VALU_DEP_1)
	v_lshlrev_b64_e32 v[2:3], 3, v[4:5]
	v_add_co_u32 v2, vcc_lo, v8, v2
	s_wait_alu 0xfffd
	s_delay_alu instid0(VALU_DEP_2)
	v_add_co_ci_u32_e32 v3, vcc_lo, v9, v3, vcc_lo
	global_store_b64 v[2:3], v[0:1], off
.LBB0_23:
	s_nop 0
	s_sendmsg sendmsg(MSG_DEALLOC_VGPRS)
	s_endpgm
	.section	.rodata,"a",@progbits
	.p2align	6, 0x0
	.amdhsa_kernel bluestein_single_back_len1904_dim1_sp_op_CI_CI
		.amdhsa_group_segment_fixed_size 15232
		.amdhsa_private_segment_fixed_size 152
		.amdhsa_kernarg_size 104
		.amdhsa_user_sgpr_count 2
		.amdhsa_user_sgpr_dispatch_ptr 0
		.amdhsa_user_sgpr_queue_ptr 0
		.amdhsa_user_sgpr_kernarg_segment_ptr 1
		.amdhsa_user_sgpr_dispatch_id 0
		.amdhsa_user_sgpr_private_segment_size 0
		.amdhsa_wavefront_size32 1
		.amdhsa_uses_dynamic_stack 0
		.amdhsa_enable_private_segment 1
		.amdhsa_system_sgpr_workgroup_id_x 1
		.amdhsa_system_sgpr_workgroup_id_y 0
		.amdhsa_system_sgpr_workgroup_id_z 0
		.amdhsa_system_sgpr_workgroup_info 0
		.amdhsa_system_vgpr_workitem_id 0
		.amdhsa_next_free_vgpr 256
		.amdhsa_next_free_sgpr 14
		.amdhsa_reserve_vcc 1
		.amdhsa_float_round_mode_32 0
		.amdhsa_float_round_mode_16_64 0
		.amdhsa_float_denorm_mode_32 3
		.amdhsa_float_denorm_mode_16_64 3
		.amdhsa_fp16_overflow 0
		.amdhsa_workgroup_processor_mode 1
		.amdhsa_memory_ordered 1
		.amdhsa_forward_progress 0
		.amdhsa_round_robin_scheduling 0
		.amdhsa_exception_fp_ieee_invalid_op 0
		.amdhsa_exception_fp_denorm_src 0
		.amdhsa_exception_fp_ieee_div_zero 0
		.amdhsa_exception_fp_ieee_overflow 0
		.amdhsa_exception_fp_ieee_underflow 0
		.amdhsa_exception_fp_ieee_inexact 0
		.amdhsa_exception_int_div_zero 0
	.end_amdhsa_kernel
	.text
.Lfunc_end0:
	.size	bluestein_single_back_len1904_dim1_sp_op_CI_CI, .Lfunc_end0-bluestein_single_back_len1904_dim1_sp_op_CI_CI
                                        ; -- End function
	.section	.AMDGPU.csdata,"",@progbits
; Kernel info:
; codeLenInByte = 27160
; NumSgprs: 16
; NumVgprs: 256
; ScratchSize: 152
; MemoryBound: 0
; FloatMode: 240
; IeeeMode: 1
; LDSByteSize: 15232 bytes/workgroup (compile time only)
; SGPRBlocks: 1
; VGPRBlocks: 31
; NumSGPRsForWavesPerEU: 16
; NumVGPRsForWavesPerEU: 256
; Occupancy: 5
; WaveLimiterHint : 1
; COMPUTE_PGM_RSRC2:SCRATCH_EN: 1
; COMPUTE_PGM_RSRC2:USER_SGPR: 2
; COMPUTE_PGM_RSRC2:TRAP_HANDLER: 0
; COMPUTE_PGM_RSRC2:TGID_X_EN: 1
; COMPUTE_PGM_RSRC2:TGID_Y_EN: 0
; COMPUTE_PGM_RSRC2:TGID_Z_EN: 0
; COMPUTE_PGM_RSRC2:TIDIG_COMP_CNT: 0
	.text
	.p2alignl 7, 3214868480
	.fill 96, 4, 3214868480
	.type	__hip_cuid_d1d3eec5d2b7471a,@object ; @__hip_cuid_d1d3eec5d2b7471a
	.section	.bss,"aw",@nobits
	.globl	__hip_cuid_d1d3eec5d2b7471a
__hip_cuid_d1d3eec5d2b7471a:
	.byte	0                               ; 0x0
	.size	__hip_cuid_d1d3eec5d2b7471a, 1

	.ident	"AMD clang version 19.0.0git (https://github.com/RadeonOpenCompute/llvm-project roc-6.4.0 25133 c7fe45cf4b819c5991fe208aaa96edf142730f1d)"
	.section	".note.GNU-stack","",@progbits
	.addrsig
	.addrsig_sym __hip_cuid_d1d3eec5d2b7471a
	.amdgpu_metadata
---
amdhsa.kernels:
  - .args:
      - .actual_access:  read_only
        .address_space:  global
        .offset:         0
        .size:           8
        .value_kind:     global_buffer
      - .actual_access:  read_only
        .address_space:  global
        .offset:         8
        .size:           8
        .value_kind:     global_buffer
      - .actual_access:  read_only
        .address_space:  global
        .offset:         16
        .size:           8
        .value_kind:     global_buffer
      - .actual_access:  read_only
        .address_space:  global
        .offset:         24
        .size:           8
        .value_kind:     global_buffer
      - .actual_access:  read_only
        .address_space:  global
        .offset:         32
        .size:           8
        .value_kind:     global_buffer
      - .offset:         40
        .size:           8
        .value_kind:     by_value
      - .address_space:  global
        .offset:         48
        .size:           8
        .value_kind:     global_buffer
      - .address_space:  global
        .offset:         56
        .size:           8
        .value_kind:     global_buffer
      - .address_space:  global
        .offset:         64
        .size:           8
        .value_kind:     global_buffer
      - .address_space:  global
        .offset:         72
        .size:           8
        .value_kind:     global_buffer
      - .offset:         80
        .size:           4
        .value_kind:     by_value
      - .address_space:  global
        .offset:         88
        .size:           8
        .value_kind:     global_buffer
      - .address_space:  global
        .offset:         96
        .size:           8
        .value_kind:     global_buffer
    .group_segment_fixed_size: 15232
    .kernarg_segment_align: 8
    .kernarg_segment_size: 104
    .language:       OpenCL C
    .language_version:
      - 2
      - 0
    .max_flat_workgroup_size: 119
    .name:           bluestein_single_back_len1904_dim1_sp_op_CI_CI
    .private_segment_fixed_size: 152
    .sgpr_count:     16
    .sgpr_spill_count: 0
    .symbol:         bluestein_single_back_len1904_dim1_sp_op_CI_CI.kd
    .uniform_work_group_size: 1
    .uses_dynamic_stack: false
    .vgpr_count:     256
    .vgpr_spill_count: 37
    .wavefront_size: 32
    .workgroup_processor_mode: 1
amdhsa.target:   amdgcn-amd-amdhsa--gfx1201
amdhsa.version:
  - 1
  - 2
...

	.end_amdgpu_metadata
